;; amdgpu-corpus repo=ROCm/rocFFT kind=compiled arch=gfx950 opt=O3
	.text
	.amdgcn_target "amdgcn-amd-amdhsa--gfx950"
	.amdhsa_code_object_version 6
	.protected	fft_rtc_back_len3600_factors_10_10_6_6_wgs_120_tpt_120_halfLds_half_ip_CI_unitstride_sbrr_dirReg ; -- Begin function fft_rtc_back_len3600_factors_10_10_6_6_wgs_120_tpt_120_halfLds_half_ip_CI_unitstride_sbrr_dirReg
	.globl	fft_rtc_back_len3600_factors_10_10_6_6_wgs_120_tpt_120_halfLds_half_ip_CI_unitstride_sbrr_dirReg
	.p2align	8
	.type	fft_rtc_back_len3600_factors_10_10_6_6_wgs_120_tpt_120_halfLds_half_ip_CI_unitstride_sbrr_dirReg,@function
fft_rtc_back_len3600_factors_10_10_6_6_wgs_120_tpt_120_halfLds_half_ip_CI_unitstride_sbrr_dirReg: ; @fft_rtc_back_len3600_factors_10_10_6_6_wgs_120_tpt_120_halfLds_half_ip_CI_unitstride_sbrr_dirReg
; %bb.0:
	s_load_dwordx2 s[8:9], s[0:1], 0x50
	s_load_dwordx4 s[4:7], s[0:1], 0x0
	s_load_dwordx2 s[10:11], s[0:1], 0x18
	v_mul_u32_u24_e32 v1, 0x223, v0
	v_add_u32_sdwa v6, s2, v1 dst_sel:DWORD dst_unused:UNUSED_PAD src0_sel:DWORD src1_sel:WORD_1
	v_mov_b32_e32 v4, 0
	s_waitcnt lgkmcnt(0)
	v_cmp_lt_u64_e64 s[2:3], s[6:7], 2
	v_mov_b32_e32 v7, v4
	s_and_b64 vcc, exec, s[2:3]
	v_mov_b64_e32 v[2:3], 0
	s_cbranch_vccnz .LBB0_8
; %bb.1:
	s_load_dwordx2 s[2:3], s[0:1], 0x10
	s_add_u32 s12, s10, 8
	s_addc_u32 s13, s11, 0
	s_mov_b64 s[14:15], 1
	v_mov_b64_e32 v[2:3], 0
	s_waitcnt lgkmcnt(0)
	s_add_u32 s16, s2, 8
	s_addc_u32 s17, s3, 0
.LBB0_2:                                ; =>This Inner Loop Header: Depth=1
	s_load_dwordx2 s[18:19], s[16:17], 0x0
                                        ; implicit-def: $vgpr8_vgpr9
	s_waitcnt lgkmcnt(0)
	v_or_b32_e32 v5, s19, v7
	v_cmp_ne_u64_e32 vcc, 0, v[4:5]
	s_and_saveexec_b64 s[2:3], vcc
	s_xor_b64 s[20:21], exec, s[2:3]
	s_cbranch_execz .LBB0_4
; %bb.3:                                ;   in Loop: Header=BB0_2 Depth=1
	v_cvt_f32_u32_e32 v1, s18
	v_cvt_f32_u32_e32 v5, s19
	s_sub_u32 s2, 0, s18
	s_subb_u32 s3, 0, s19
	v_fmac_f32_e32 v1, 0x4f800000, v5
	v_rcp_f32_e32 v1, v1
	s_nop 0
	v_mul_f32_e32 v1, 0x5f7ffffc, v1
	v_mul_f32_e32 v5, 0x2f800000, v1
	v_trunc_f32_e32 v5, v5
	v_fmac_f32_e32 v1, 0xcf800000, v5
	v_cvt_u32_f32_e32 v5, v5
	v_cvt_u32_f32_e32 v1, v1
	v_mul_lo_u32 v8, s2, v5
	v_mul_hi_u32 v10, s2, v1
	v_mul_lo_u32 v9, s3, v1
	v_add_u32_e32 v10, v10, v8
	v_mul_lo_u32 v12, s2, v1
	v_add_u32_e32 v13, v10, v9
	v_mul_hi_u32 v8, v1, v12
	v_mul_hi_u32 v11, v1, v13
	v_mul_lo_u32 v10, v1, v13
	v_mov_b32_e32 v9, v4
	v_lshl_add_u64 v[8:9], v[8:9], 0, v[10:11]
	v_mul_hi_u32 v11, v5, v12
	v_mul_lo_u32 v12, v5, v12
	v_add_co_u32_e32 v8, vcc, v8, v12
	v_mul_hi_u32 v10, v5, v13
	s_nop 0
	v_addc_co_u32_e32 v8, vcc, v9, v11, vcc
	v_mov_b32_e32 v9, v4
	s_nop 0
	v_addc_co_u32_e32 v11, vcc, 0, v10, vcc
	v_mul_lo_u32 v10, v5, v13
	v_lshl_add_u64 v[8:9], v[8:9], 0, v[10:11]
	v_add_co_u32_e32 v1, vcc, v1, v8
	v_mul_lo_u32 v10, s2, v1
	s_nop 0
	v_addc_co_u32_e32 v5, vcc, v5, v9, vcc
	v_mul_lo_u32 v8, s2, v5
	v_mul_hi_u32 v9, s2, v1
	v_add_u32_e32 v8, v9, v8
	v_mul_lo_u32 v9, s3, v1
	v_add_u32_e32 v12, v8, v9
	v_mul_hi_u32 v14, v5, v10
	v_mul_lo_u32 v15, v5, v10
	v_mul_hi_u32 v9, v1, v12
	v_mul_lo_u32 v8, v1, v12
	v_mul_hi_u32 v10, v1, v10
	v_mov_b32_e32 v11, v4
	v_lshl_add_u64 v[8:9], v[10:11], 0, v[8:9]
	v_add_co_u32_e32 v8, vcc, v8, v15
	v_mul_hi_u32 v13, v5, v12
	s_nop 0
	v_addc_co_u32_e32 v8, vcc, v9, v14, vcc
	v_mul_lo_u32 v10, v5, v12
	s_nop 0
	v_addc_co_u32_e32 v11, vcc, 0, v13, vcc
	v_mov_b32_e32 v9, v4
	v_lshl_add_u64 v[8:9], v[8:9], 0, v[10:11]
	v_add_co_u32_e32 v1, vcc, v1, v8
	v_mul_hi_u32 v10, v6, v1
	s_nop 0
	v_addc_co_u32_e32 v5, vcc, v5, v9, vcc
	v_mad_u64_u32 v[8:9], s[2:3], v6, v5, 0
	v_mov_b32_e32 v11, v4
	v_lshl_add_u64 v[8:9], v[10:11], 0, v[8:9]
	v_mad_u64_u32 v[12:13], s[2:3], v7, v1, 0
	v_add_co_u32_e32 v1, vcc, v8, v12
	v_mad_u64_u32 v[10:11], s[2:3], v7, v5, 0
	s_nop 0
	v_addc_co_u32_e32 v8, vcc, v9, v13, vcc
	v_mov_b32_e32 v9, v4
	s_nop 0
	v_addc_co_u32_e32 v11, vcc, 0, v11, vcc
	v_lshl_add_u64 v[8:9], v[8:9], 0, v[10:11]
	v_mul_lo_u32 v1, s19, v8
	v_mul_lo_u32 v5, s18, v9
	v_mad_u64_u32 v[10:11], s[2:3], s18, v8, 0
	v_add3_u32 v1, v11, v5, v1
	v_sub_u32_e32 v5, v7, v1
	v_mov_b32_e32 v11, s19
	v_sub_co_u32_e32 v14, vcc, v6, v10
	v_lshl_add_u64 v[12:13], v[8:9], 0, 1
	s_nop 0
	v_subb_co_u32_e64 v5, s[2:3], v5, v11, vcc
	v_subrev_co_u32_e64 v10, s[2:3], s18, v14
	v_subb_co_u32_e32 v1, vcc, v7, v1, vcc
	s_nop 0
	v_subbrev_co_u32_e64 v5, s[2:3], 0, v5, s[2:3]
	v_cmp_le_u32_e64 s[2:3], s19, v5
	v_cmp_le_u32_e32 vcc, s19, v1
	s_nop 0
	v_cndmask_b32_e64 v11, 0, -1, s[2:3]
	v_cmp_le_u32_e64 s[2:3], s18, v10
	s_nop 1
	v_cndmask_b32_e64 v10, 0, -1, s[2:3]
	v_cmp_eq_u32_e64 s[2:3], s19, v5
	s_nop 1
	v_cndmask_b32_e64 v5, v11, v10, s[2:3]
	v_lshl_add_u64 v[10:11], v[8:9], 0, 2
	v_cmp_ne_u32_e64 s[2:3], 0, v5
	s_nop 1
	v_cndmask_b32_e64 v5, v13, v11, s[2:3]
	v_cndmask_b32_e64 v11, 0, -1, vcc
	v_cmp_le_u32_e32 vcc, s18, v14
	s_nop 1
	v_cndmask_b32_e64 v13, 0, -1, vcc
	v_cmp_eq_u32_e32 vcc, s19, v1
	s_nop 1
	v_cndmask_b32_e32 v1, v11, v13, vcc
	v_cmp_ne_u32_e32 vcc, 0, v1
	v_cndmask_b32_e64 v1, v12, v10, s[2:3]
	s_nop 0
	v_cndmask_b32_e32 v9, v9, v5, vcc
	v_cndmask_b32_e32 v8, v8, v1, vcc
.LBB0_4:                                ;   in Loop: Header=BB0_2 Depth=1
	s_andn2_saveexec_b64 s[2:3], s[20:21]
	s_cbranch_execz .LBB0_6
; %bb.5:                                ;   in Loop: Header=BB0_2 Depth=1
	v_cvt_f32_u32_e32 v1, s18
	s_sub_i32 s20, 0, s18
	v_rcp_iflag_f32_e32 v1, v1
	s_nop 0
	v_mul_f32_e32 v1, 0x4f7ffffe, v1
	v_cvt_u32_f32_e32 v1, v1
	v_mul_lo_u32 v5, s20, v1
	v_mul_hi_u32 v5, v1, v5
	v_add_u32_e32 v1, v1, v5
	v_mul_hi_u32 v1, v6, v1
	v_mul_lo_u32 v5, v1, s18
	v_sub_u32_e32 v5, v6, v5
	v_add_u32_e32 v8, 1, v1
	v_subrev_u32_e32 v9, s18, v5
	v_cmp_le_u32_e32 vcc, s18, v5
	s_nop 1
	v_cndmask_b32_e32 v5, v5, v9, vcc
	v_cndmask_b32_e32 v1, v1, v8, vcc
	v_add_u32_e32 v8, 1, v1
	v_cmp_le_u32_e32 vcc, s18, v5
	v_mov_b32_e32 v9, v4
	s_nop 0
	v_cndmask_b32_e32 v8, v1, v8, vcc
.LBB0_6:                                ;   in Loop: Header=BB0_2 Depth=1
	s_or_b64 exec, exec, s[2:3]
	v_mad_u64_u32 v[10:11], s[2:3], v8, s18, 0
	s_load_dwordx2 s[2:3], s[12:13], 0x0
	v_mul_lo_u32 v1, v9, s18
	v_mul_lo_u32 v5, v8, s19
	v_add3_u32 v1, v11, v5, v1
	v_sub_co_u32_e32 v5, vcc, v6, v10
	s_add_u32 s14, s14, 1
	s_nop 0
	v_subb_co_u32_e32 v1, vcc, v7, v1, vcc
	s_addc_u32 s15, s15, 0
	s_waitcnt lgkmcnt(0)
	v_mul_lo_u32 v1, s2, v1
	v_mul_lo_u32 v6, s3, v5
	v_mad_u64_u32 v[2:3], s[2:3], s2, v5, v[2:3]
	s_add_u32 s12, s12, 8
	v_add3_u32 v3, v6, v3, v1
	s_addc_u32 s13, s13, 0
	v_mov_b64_e32 v[6:7], s[6:7]
	s_add_u32 s16, s16, 8
	v_cmp_ge_u64_e32 vcc, s[14:15], v[6:7]
	s_addc_u32 s17, s17, 0
	s_cbranch_vccnz .LBB0_9
; %bb.7:                                ;   in Loop: Header=BB0_2 Depth=1
	v_mov_b64_e32 v[6:7], v[8:9]
	s_branch .LBB0_2
.LBB0_8:
	v_mov_b64_e32 v[8:9], v[6:7]
.LBB0_9:
	s_lshl_b64 s[2:3], s[6:7], 3
	s_add_u32 s2, s10, s2
	s_addc_u32 s3, s11, s3
	s_load_dwordx2 s[6:7], s[2:3], 0x0
	s_load_dwordx2 s[10:11], s[0:1], 0x20
	s_mov_b32 s2, 0x2222223
                                        ; implicit-def: $vgpr5
                                        ; implicit-def: $vgpr41
                                        ; implicit-def: $vgpr6
                                        ; implicit-def: $vgpr19
                                        ; implicit-def: $vgpr43
                                        ; implicit-def: $vgpr13
                                        ; implicit-def: $vgpr7
                                        ; implicit-def: $vgpr12
                                        ; implicit-def: $vgpr42
                                        ; implicit-def: $vgpr14
                                        ; implicit-def: $vgpr10
                                        ; implicit-def: $vgpr32
                                        ; implicit-def: $vgpr11
                                        ; implicit-def: $vgpr25
                                        ; implicit-def: $vgpr23
                                        ; implicit-def: $vgpr47
                                        ; implicit-def: $vgpr60
                                        ; implicit-def: $vgpr15
                                        ; implicit-def: $vgpr29
                                        ; implicit-def: $vgpr48
                                        ; implicit-def: $vgpr61
                                        ; implicit-def: $vgpr22
                                        ; implicit-def: $vgpr33
                                        ; implicit-def: $vgpr49
                                        ; implicit-def: $vgpr66
                                        ; implicit-def: $vgpr62
                                        ; implicit-def: $vgpr65
                                        ; implicit-def: $vgpr46
                                        ; implicit-def: $vgpr63
                                        ; implicit-def: $vgpr35
                                        ; implicit-def: $vgpr45
                                        ; implicit-def: $vgpr64
                                        ; implicit-def: $vgpr44
                                        ; implicit-def: $vgpr26
                                        ; implicit-def: $vgpr54
                                        ; implicit-def: $vgpr30
                                        ; implicit-def: $vgpr20
                                        ; implicit-def: $vgpr27
                                        ; implicit-def: $vgpr53
                                        ; implicit-def: $vgpr34
                                        ; implicit-def: $vgpr24
                                        ; implicit-def: $vgpr37
                                        ; implicit-def: $vgpr58
                                        ; implicit-def: $vgpr40
                                        ; implicit-def: $vgpr31
                                        ; implicit-def: $vgpr39
                                        ; implicit-def: $vgpr56
                                        ; implicit-def: $vgpr36
                                        ; implicit-def: $vgpr21
                                        ; implicit-def: $vgpr28
                                        ; implicit-def: $vgpr57
                                        ; implicit-def: $vgpr38
                                        ; implicit-def: $vgpr50
	s_waitcnt lgkmcnt(0)
	v_mul_lo_u32 v1, s6, v9
	v_mul_lo_u32 v4, s7, v8
	v_mad_u64_u32 v[2:3], s[0:1], s6, v8, v[2:3]
	v_add3_u32 v3, v4, v3, v1
	v_mul_hi_u32 v1, v0, s2
	v_mul_u32_u24_e32 v1, 0x78, v1
	v_cmp_gt_u64_e64 s[0:1], s[10:11], v[8:9]
	v_sub_u32_e32 v18, v0, v1
	v_lshl_add_u64 v[16:17], v[2:3], 2, s[8:9]
                                        ; implicit-def: $vgpr2
                                        ; implicit-def: $vgpr3
                                        ; implicit-def: $vgpr8
                                        ; implicit-def: $vgpr0
                                        ; implicit-def: $vgpr9
                                        ; implicit-def: $vgpr4
                                        ; implicit-def: $vgpr1
	s_and_saveexec_b64 s[2:3], s[0:1]
	s_cbranch_execz .LBB0_11
; %bb.10:
	v_mov_b32_e32 v19, 0
	v_lshl_add_u64 v[4:5], v[18:19], 2, v[16:17]
	s_movk_i32 s6, 0x1000
	v_add_co_u32_e32 v8, vcc, s6, v4
	s_movk_i32 s6, 0x2000
	s_nop 0
	v_addc_co_u32_e32 v9, vcc, 0, v5, vcc
	v_add_co_u32_e32 v12, vcc, s6, v4
	s_movk_i32 s6, 0x3000
	s_nop 0
	v_addc_co_u32_e32 v13, vcc, 0, v5, vcc
	v_add_co_u32_e32 v26, vcc, s6, v4
	v_or_b32_e32 v2, 0x780, v18
	v_mov_b32_e32 v3, v19
	v_addc_co_u32_e32 v27, vcc, 0, v5, vcc
	v_lshl_add_u64 v[28:29], v[2:3], 2, v[16:17]
	global_load_dword v53, v[12:13], off offset:1888
	global_load_dword v20, v[12:13], off offset:3328
	;; [unrolled: 1-line block ×3, first 2 shown]
	global_load_dword v50, v[4:5], off
	global_load_dword v44, v[4:5], off offset:480
	global_load_dword v57, v[4:5], off offset:1440
	global_load_dword v45, v[4:5], off offset:1920
	global_load_dword v21, v[4:5], off offset:2880
	global_load_dword v1, v[4:5], off offset:3360
	global_load_dword v56, v[8:9], off offset:224
	global_load_dword v46, v[8:9], off offset:704
	global_load_dword v32, v[4:5], off offset:2400
	global_load_dword v25, v[4:5], off offset:960
	global_load_dword v24, v[12:13], off offset:448
	global_load_dword v49, v[28:29], off
	global_load_dword v22, v[12:13], off offset:928
	global_load_dword v48, v[12:13], off offset:2368
	;; [unrolled: 1-line block ×14, first 2 shown]
                                        ; kill: killed $vgpr4 killed $vgpr5
                                        ; kill: killed $vgpr12 killed $vgpr13
                                        ; kill: killed $vgpr28_vgpr29
                                        ; kill: killed $vgpr26 killed $vgpr27
	global_load_dword v43, v[8:9], off offset:4064
	s_waitcnt vmcnt(15)
	v_lshrrev_b32_e32 v33, 16, v49
	s_waitcnt vmcnt(14)
	v_lshrrev_b32_e32 v61, 16, v22
	;; [unrolled: 2-line block ×7, first 2 shown]
	v_lshrrev_b32_e32 v26, 16, v54
	v_lshrrev_b32_e32 v38, 16, v50
	;; [unrolled: 1-line block ×7, first 2 shown]
	s_waitcnt vmcnt(7)
	v_lshrrev_b32_e32 v6, 16, v2
	v_lshrrev_b32_e32 v27, 16, v53
	;; [unrolled: 1-line block ×7, first 2 shown]
	s_waitcnt vmcnt(6)
	v_lshrrev_b32_e32 v40, 16, v31
	s_waitcnt vmcnt(4)
	v_lshrrev_b32_e32 v37, 16, v58
	v_lshrrev_b32_e32 v65, 16, v46
	v_lshrrev_b32_e32 v66, 16, v62
	s_waitcnt vmcnt(1)
	v_lshrrev_b32_e32 v14, 16, v10
	v_lshrrev_b32_e32 v12, 16, v42
	;; [unrolled: 4-line block ×3, first 2 shown]
.LBB0_11:
	s_or_b64 exec, exec, s[2:3]
	v_sub_f16_e32 v51, v21, v31
	v_sub_f16_e32 v52, v20, v24
	v_add_f16_e32 v59, v52, v51
	v_sub_f16_e32 v51, v31, v21
	v_sub_f16_e32 v52, v24, v20
	v_add_f16_e32 v51, v52, v51
	v_add_f16_e32 v52, v20, v21
	s_mov_b32 s8, 0xbb9c
	s_movk_i32 s3, 0x3b9c
	v_fma_f16 v52, v52, -0.5, v50
	v_sub_f16_e32 v68, v40, v34
	s_mov_b32 s7, 0xb8b4
	s_movk_i32 s2, 0x38b4
	v_sub_f16_e32 v67, v36, v30
	v_fma_f16 v55, v68, s3, v52
	v_fma_f16 v52, v68, s8, v52
	s_movk_i32 s6, 0x34f2
	v_fma_f16 v55, v67, s7, v55
	v_fma_f16 v52, v67, s2, v52
	;; [unrolled: 1-line block ×4, first 2 shown]
	v_sub_f16_e32 v51, v56, v58
	v_sub_f16_e32 v52, v54, v53
	v_add_f16_e32 v70, v52, v51
	v_sub_f16_e32 v51, v58, v56
	v_sub_f16_e32 v52, v53, v54
	v_add_f16_e32 v52, v52, v51
	v_add_f16_e32 v51, v54, v56
	v_fma_f16 v71, v51, -0.5, v57
	v_sub_f16_e32 v73, v37, v27
	v_sub_f16_e32 v72, v39, v26
	v_fma_f16 v51, v73, s3, v71
	v_fma_f16 v71, v73, s8, v71
	v_fma_f16 v51, v72, s7, v51
	v_fma_f16 v71, v72, s2, v71
	v_fma_f16 v51, v52, s6, v51
	v_fma_f16 v52, v52, s6, v71
	v_add_f16_e32 v71, v53, v58
	v_fma_f16 v71, v71, -0.5, v57
	v_add_f16_e32 v57, v56, v57
	v_add_f16_e32 v57, v58, v57
	;; [unrolled: 1-line block ×4, first 2 shown]
	v_sub_f16_e32 v56, v56, v54
	v_sub_f16_e32 v58, v58, v53
	;; [unrolled: 1-line block ×4, first 2 shown]
	v_add_f16_e32 v74, v54, v53
	v_sub_f16_e32 v53, v37, v39
	v_sub_f16_e32 v54, v27, v26
	v_add_f16_e32 v54, v54, v53
	v_add_f16_e32 v53, v26, v39
	v_fma_f16 v75, v53, -0.5, v28
	v_fma_f16 v53, v58, s8, v75
	v_fma_f16 v75, v58, s3, v75
	;; [unrolled: 1-line block ×6, first 2 shown]
	v_mul_f16_e32 v75, 0xbb9c, v53
	s_mov_b32 s9, 0xb4f2
	v_mul_f16_e32 v76, 0xbb9c, v54
	v_fma_f16 v75, v51, s6, v75
	v_fma_f16 v76, v52, s9, v76
	v_add_f16_e32 v81, v27, v37
	v_add_f16_e32 v77, v69, v75
	;; [unrolled: 1-line block ×3, first 2 shown]
	v_fma_f16 v81, v81, -0.5, v28
	v_pack_b32_f16 v77, v77, v78
	v_add_f16_e32 v78, v24, v31
	v_fma_f16 v82, v56, s3, v81
	v_fma_f16 v78, v78, -0.5, v50
	v_add_f16_e32 v50, v21, v50
	v_fma_f16 v80, v72, s8, v71
	v_fma_f16 v82, v58, s2, v82
	v_add_f16_e32 v50, v31, v50
	v_fma_f16 v79, v67, s8, v78
	v_fma_f16 v80, v73, s7, v80
	;; [unrolled: 1-line block ×4, first 2 shown]
	v_add_f16_e32 v50, v24, v50
	v_fma_f16 v79, v68, s7, v79
	v_fma_f16 v80, v70, s6, v80
	s_movk_i32 s10, 0x3a79
	v_mul_f16_e32 v83, 0xb8b4, v82
	v_fma_f16 v67, v68, s2, v67
	v_fma_f16 v56, v56, s8, v81
	v_add_f16_e32 v50, v20, v50
	v_fma_f16 v79, v59, s6, v79
	v_fma_f16 v83, v80, s10, v83
	;; [unrolled: 1-line block ×5, first 2 shown]
	v_add_f16_e32 v84, v57, v50
	v_fma_f16 v67, v73, s2, v67
	v_fma_f16 v68, v74, s6, v56
	v_sub_f16_e32 v50, v50, v57
	v_sub_f16_e32 v56, v79, v83
	;; [unrolled: 1-line block ×3, first 2 shown]
	v_fma_f16 v67, v70, s6, v67
	v_pack_b32_f16 v56, v56, v57
	s_mov_b32 s11, 0xba79
	v_mul_f16_e32 v57, 0xb8b4, v68
	v_add_f16_e32 v85, v79, v83
	v_fma_f16 v57, v67, s11, v57
	v_pack_b32_f16 v84, v84, v85
	v_mul_u32_u24_e32 v85, 10, v18
	v_add_f16_e32 v58, v59, v57
	v_lshl_add_u32 v85, v85, 1, 0
	v_pack_b32_f16 v50, v58, v50
	ds_write2_b32 v85, v50, v56 offset0:2 offset1:3
	v_sub_f16_e32 v50, v1, v62
	v_sub_f16_e32 v56, v15, v22
	v_add_f16_e32 v50, v56, v50
	v_sub_f16_e32 v56, v62, v1
	v_sub_f16_e32 v58, v22, v15
	v_add_f16_e32 v56, v58, v56
	v_add_f16_e32 v58, v15, v1
	v_fma_f16 v58, v58, -0.5, v44
	v_sub_f16_e32 v70, v66, v61
	v_sub_f16_e32 v69, v63, v60
	v_fma_f16 v71, v70, s3, v58
	v_fma_f16 v58, v70, s8, v58
	;; [unrolled: 1-line block ×6, first 2 shown]
	v_sub_f16_e32 v58, v46, v49
	v_sub_f16_e32 v72, v47, v48
	v_add_f16_e32 v58, v72, v58
	v_sub_f16_e32 v72, v49, v46
	v_sub_f16_e32 v73, v48, v47
	v_add_f16_e32 v72, v73, v72
	v_add_f16_e32 v73, v47, v46
	v_fma_f16 v73, v73, -0.5, v45
	v_sub_f16_e32 v75, v33, v29
	ds_write2_b32 v85, v84, v77 offset1:1
	v_sub_f16_e32 v74, v65, v23
	v_fma_f16 v77, v75, s3, v73
	v_fma_f16 v73, v75, s8, v73
	;; [unrolled: 1-line block ×6, first 2 shown]
	v_add_f16_e32 v73, v48, v49
	v_fma_f16 v73, v73, -0.5, v45
	v_add_f16_e32 v45, v46, v45
	v_add_f16_e32 v45, v49, v45
	;; [unrolled: 1-line block ×4, first 2 shown]
	v_sub_f16_e32 v46, v46, v47
	v_sub_f16_e32 v47, v49, v48
	;; [unrolled: 1-line block ×4, first 2 shown]
	v_add_f16_e32 v48, v49, v48
	v_sub_f16_e32 v49, v33, v65
	v_sub_f16_e32 v78, v29, v23
	v_add_f16_e32 v49, v78, v49
	v_add_f16_e32 v78, v23, v65
	v_fma_f16 v78, v78, -0.5, v35
	v_fma_f16 v79, v47, s8, v78
	v_fma_f16 v78, v47, s3, v78
	;; [unrolled: 1-line block ×6, first 2 shown]
	v_mul_f16_e32 v49, 0xbb9c, v79
	v_mul_f16_e32 v81, 0xbb9c, v78
	v_fma_f16 v49, v77, s6, v49
	v_fma_f16 v81, v72, s9, v81
	v_add_f16_e32 v88, v29, v33
	v_add_f16_e32 v83, v71, v49
	;; [unrolled: 1-line block ×3, first 2 shown]
	v_fma_f16 v88, v88, -0.5, v35
	v_pack_b32_f16 v83, v83, v84
	v_add_f16_e32 v84, v22, v62
	v_fma_f16 v89, v46, s3, v88
	v_fma_f16 v84, v84, -0.5, v44
	v_add_f16_e32 v44, v1, v44
	v_fma_f16 v87, v74, s8, v73
	v_fma_f16 v89, v47, s2, v89
	v_add_f16_e32 v44, v62, v44
	v_fma_f16 v86, v69, s8, v84
	v_fma_f16 v87, v75, s7, v87
	;; [unrolled: 1-line block ×4, first 2 shown]
	v_add_f16_e32 v44, v22, v44
	v_fma_f16 v86, v70, s7, v86
	v_fma_f16 v87, v58, s6, v87
	v_mul_f16_e32 v90, 0xb8b4, v89
	v_fma_f16 v69, v70, s2, v69
	v_fma_f16 v46, v46, s8, v88
	v_add_f16_e32 v44, v15, v44
	v_fma_f16 v86, v50, s6, v86
	v_fma_f16 v90, v87, s10, v90
	;; [unrolled: 1-line block ×5, first 2 shown]
	v_add_f16_e32 v91, v45, v44
	v_fma_f16 v69, v75, s2, v69
	v_fma_f16 v70, v48, s6, v46
	v_sub_f16_e32 v44, v44, v45
	v_sub_f16_e32 v45, v86, v90
	;; [unrolled: 1-line block ×3, first 2 shown]
	v_fma_f16 v69, v58, s6, v69
	v_pack_b32_f16 v45, v45, v46
	v_mul_f16_e32 v46, 0xb8b4, v70
	v_fma_f16 v46, v69, s11, v46
	v_sub_f16_e32 v48, v10, v7
	v_sub_f16_e32 v49, v2, v0
	v_add_f16_e32 v47, v50, v46
	v_sub_f16_e32 v46, v50, v46
	v_add_f16_e32 v48, v49, v48
	v_sub_f16_e32 v49, v7, v10
	v_sub_f16_e32 v50, v0, v2
	v_add_f16_e32 v49, v50, v49
	v_add_f16_e32 v50, v2, v10
	v_pack_b32_f16 v44, v47, v44
	v_add_u32_e32 v71, 0x968, v85
	v_sub_f16_e32 v47, v56, v81
	v_fma_f16 v50, v50, -0.5, v25
	v_sub_f16_e32 v56, v13, v8
	ds_write2_b32 v71, v44, v45 offset1:1
	v_sub_f16_e32 v44, v55, v76
	v_sub_f16_e32 v45, v59, v57
	;; [unrolled: 1-line block ×3, first 2 shown]
	v_fma_f16 v57, v56, s3, v50
	v_fma_f16 v50, v56, s8, v50
	;; [unrolled: 1-line block ×6, first 2 shown]
	v_sub_f16_e32 v50, v42, v43
	v_sub_f16_e32 v58, v41, v19
	v_add_f16_e32 v50, v58, v50
	v_sub_f16_e32 v58, v43, v42
	v_sub_f16_e32 v59, v19, v41
	v_add_f16_e32 v58, v59, v58
	v_add_f16_e32 v59, v41, v42
	v_fma_f16 v59, v59, -0.5, v32
	v_sub_f16_e32 v74, v9, v3
	v_sub_f16_e32 v73, v12, v5
	v_fma_f16 v75, v74, s3, v59
	v_fma_f16 v59, v74, s8, v59
	;; [unrolled: 1-line block ×6, first 2 shown]
	v_add_f16_e32 v58, v19, v43
	v_fma_f16 v58, v58, -0.5, v32
	v_add_f16_e32 v32, v42, v32
	v_add_f16_e32 v32, v43, v32
	v_add_f16_e32 v32, v19, v32
	v_add_f16_e32 v32, v41, v32
	v_sub_f16_e32 v41, v42, v41
	v_sub_f16_e32 v42, v43, v19
	;; [unrolled: 1-line block ×4, first 2 shown]
	v_add_f16_e32 v43, v43, v19
	v_sub_f16_e32 v19, v9, v12
	v_sub_f16_e32 v59, v3, v5
	v_add_f16_e32 v19, v59, v19
	v_add_f16_e32 v59, v5, v12
	v_fma_f16 v59, v59, -0.5, v4
	v_add_f16_e32 v92, v86, v90
	v_fma_f16 v81, v42, s8, v59
	v_fma_f16 v59, v42, s3, v59
	v_pack_b32_f16 v91, v91, v92
	v_add_u32_e32 v92, 0x960, v85
	v_fma_f16 v81, v41, s2, v81
	v_fma_f16 v59, v41, s7, v59
	ds_write2_b32 v92, v91, v83 offset1:1
	v_fma_f16 v81, v19, s6, v81
	v_fma_f16 v83, v19, s6, v59
	v_pack_b32_f16 v19, v44, v45
	ds_write_b32 v85, v19 offset:16
	v_pack_b32_f16 v19, v47, v46
	ds_write_b32 v85, v19 offset:2416
	v_mul_f16_e32 v19, 0xbb9c, v81
	v_fma_f16 v44, v75, s6, v19
	v_mul_f16_e32 v19, 0xbb9c, v83
	v_fma_f16 v45, v76, s9, v19
	v_add_f16_e32 v19, v57, v44
	v_add_f16_e32 v46, v49, v45
	v_pack_b32_f16 v46, v19, v46
	v_add_f16_e32 v19, v0, v7
	v_fma_f16 v47, v19, -0.5, v25
	v_add_f16_e32 v19, v10, v25
	v_add_f16_e32 v19, v7, v19
	;; [unrolled: 1-line block ×4, first 2 shown]
	v_fma_f16 v19, v55, s8, v47
	v_fma_f16 v19, v56, s7, v19
	;; [unrolled: 1-line block ×6, first 2 shown]
	v_add_f16_e32 v19, v3, v9
	v_fma_f16 v88, v19, -0.5, v4
	v_fma_f16 v19, v41, s3, v88
	v_fma_f16 v19, v42, s2, v19
	;; [unrolled: 1-line block ×3, first 2 shown]
	v_mul_f16_e32 v19, 0xb8b4, v90
	v_fma_f16 v91, v86, s10, v19
	v_add_f16_e32 v19, v32, v59
	v_add_f16_e32 v25, v84, v91
	v_pack_b32_f16 v93, v19, v25
	v_add_u32_e32 v25, 0xf0, v18
	v_mul_u32_u24_e32 v19, 10, v25
	v_lshl_add_u32 v19, v19, 1, 0
	v_fma_f16 v41, v41, s8, v88
	ds_write2_b32 v19, v93, v46 offset1:1
	v_fma_f16 v46, v55, s3, v47
	v_fma_f16 v47, v73, s3, v58
	;; [unrolled: 1-line block ×5, first 2 shown]
	v_sub_f16_e32 v41, v84, v91
	v_sub_f16_e32 v84, v21, v20
	;; [unrolled: 1-line block ×4, first 2 shown]
	v_add_f16_e32 v91, v21, v20
	v_add_f16_e32 v21, v36, v38
	;; [unrolled: 1-line block ×4, first 2 shown]
	v_fma_f16 v93, v20, -0.5, v38
	v_add_f16_e32 v20, v30, v36
	v_add_f16_e32 v21, v34, v21
	v_sub_f16_e32 v88, v31, v24
	v_fma_f16 v20, v20, -0.5, v38
	v_sub_f16_e32 v24, v40, v36
	v_add_f16_e32 v94, v30, v21
	v_sub_f16_e32 v21, v34, v30
	v_add_f16_e32 v21, v21, v24
	v_fma_f16 v24, v88, s8, v20
	v_fma_f16 v20, v88, s3, v20
	v_fma_f16 v20, v84, s7, v20
	v_fma_f16 v96, v21, s6, v20
	v_add_f16_e32 v20, v39, v28
	v_add_f16_e32 v20, v37, v20
	;; [unrolled: 1-line block ×3, first 2 shown]
	v_sub_f16_e32 v42, v57, v44
	v_add_f16_e32 v97, v26, v20
	v_mul_f16_e32 v20, 0x38b4, v80
	v_fma_f16 v46, v56, s2, v46
	v_fma_f16 v73, v50, s6, v47
	v_pack_b32_f16 v41, v41, v42
	v_mul_f16_e32 v42, 0xb8b4, v74
	v_fma_f16 v80, v82, s10, v20
	v_mul_f16_e32 v20, 0x3b9c, v51
	v_fma_f16 v46, v48, s6, v46
	v_fma_f16 v42, v73, s11, v42
	;; [unrolled: 1-line block ×4, first 2 shown]
	v_mul_f16_e32 v20, 0xb4f2, v54
	v_fma_f16 v95, v21, s6, v24
	v_fma_f16 v98, v52, s3, v20
	v_sub_f16_e32 v20, v49, v45
	v_sub_f16_e32 v21, v46, v42
	v_pack_b32_f16 v20, v20, v21
	ds_write_b32 v19, v20 offset:16
	v_add_f16_e32 v20, v95, v82
	v_add_f16_e32 v21, v96, v98
	v_pack_b32_f16 v99, v20, v21
	v_fma_f16 v20, v84, s3, v93
	v_fma_f16 v20, v88, s2, v20
	;; [unrolled: 1-line block ×5, first 2 shown]
	v_mul_f16_e32 v68, 0xba79, v68
	v_add_f16_e32 v21, v100, v80
	v_fma_f16 v84, v91, s6, v84
	v_fma_f16 v67, v67, s2, v68
	v_sub_f16_e32 v80, v100, v80
	v_sub_f16_e32 v82, v95, v82
	;; [unrolled: 1-line block ×7, first 2 shown]
	v_add_f16_e32 v43, v46, v42
	s_movk_i32 s12, 0xffee
	v_sub_f16_e32 v68, v94, v97
	v_pack_b32_f16 v80, v80, v82
	v_add_f16_e32 v82, v84, v67
	v_add_f16_e32 v22, v62, v22
	;; [unrolled: 1-line block ×3, first 2 shown]
	v_pack_b32_f16 v32, v43, v32
	v_add_f16_e32 v20, v97, v94
	v_add_u32_e32 v26, 0x168, v18
	v_mad_i32_i24 v24, v18, s12, v85
	v_pack_b32_f16 v68, v82, v68
	v_fma_f16 v62, v62, -0.5, v64
	ds_write2_b32 v19, v32, v41 offset0:2 offset1:3
	v_pack_b32_f16 v101, v20, v21
	s_waitcnt lgkmcnt(0)
	s_barrier
	v_lshl_add_u32 v27, v26, 1, 0
	ds_read_u16 v30, v24
	ds_read_u16 v21, v24 offset:240
	ds_read_u16 v47, v24 offset:960
	ds_read_u16 v45, v24 offset:2400
	ds_read_u16 v52, v24 offset:4320
	ds_read_u16 v44, v24 offset:4560
	v_mad_i32_i24 v28, v25, s12, v19
	ds_read_u16 v56, v24 offset:2160
	ds_read_u16 v39, v24 offset:1920
	;; [unrolled: 1-line block ×18, first 2 shown]
	ds_read_u16 v20, v28
	ds_read_u16 v59, v27
	ds_read_u16 v31, v24 offset:6960
	ds_read_u16 v32, v24 offset:6720
	;; [unrolled: 1-line block ×4, first 2 shown]
	s_waitcnt lgkmcnt(0)
	s_barrier
	ds_write2_b32 v85, v68, v80 offset0:2 offset1:3
	v_fma_f16 v80, v1, s3, v62
	v_fma_f16 v62, v1, s8, v62
	;; [unrolled: 1-line block ×6, first 2 shown]
	v_add_f16_e32 v62, v60, v63
	v_fma_f16 v62, v62, -0.5, v64
	v_add_f16_e32 v64, v63, v64
	v_add_f16_e32 v64, v66, v64
	v_add_f16_e32 v64, v61, v64
	v_sub_f16_e32 v63, v66, v63
	v_add_f16_e32 v64, v60, v64
	v_sub_f16_e32 v60, v61, v60
	v_fma_f16 v61, v15, s8, v62
	v_fma_f16 v15, v15, s3, v62
	v_add_f16_e32 v35, v65, v35
	v_add_f16_e32 v60, v60, v63
	v_fma_f16 v61, v1, s2, v61
	v_fma_f16 v1, v1, s7, v15
	v_add_f16_e32 v33, v33, v35
	v_sub_f16_e32 v2, v10, v2
	v_sub_f16_e32 v0, v7, v0
	;; [unrolled: 1-line block ×4, first 2 shown]
	v_fma_f16 v15, v60, s6, v61
	v_fma_f16 v1, v60, s6, v1
	v_add_f16_e32 v29, v29, v33
	v_mul_f16_e32 v33, 0x3b9c, v77
	v_mul_f16_e32 v35, 0xb4f2, v78
	;; [unrolled: 1-line block ×3, first 2 shown]
	v_add_f16_e32 v7, v10, v7
	v_add_f16_e32 v10, v8, v13
	v_fma_f16 v33, v79, s6, v33
	v_fma_f16 v35, v72, s3, v35
	;; [unrolled: 1-line block ×3, first 2 shown]
	v_fma_f16 v10, v10, -0.5, v11
	v_add_f16_e32 v63, v15, v33
	v_sub_f16_e32 v15, v15, v33
	v_add_f16_e32 v33, v1, v35
	v_sub_f16_e32 v1, v1, v35
	;; [unrolled: 2-line block ×3, first 2 shown]
	v_fma_f16 v60, v2, s3, v10
	v_fma_f16 v10, v2, s8, v10
	;; [unrolled: 1-line block ×6, first 2 shown]
	v_add_f16_e32 v10, v6, v14
	v_fma_f16 v10, v10, -0.5, v11
	v_add_f16_e32 v11, v14, v11
	v_add_f16_e32 v11, v13, v11
	;; [unrolled: 1-line block ×4, first 2 shown]
	v_sub_f16_e32 v13, v13, v14
	v_add_f16_e32 v11, v6, v11
	v_sub_f16_e32 v6, v8, v6
	v_fma_f16 v8, v0, s8, v10
	v_fma_f16 v0, v0, s3, v10
	v_add_f16_e32 v4, v9, v4
	v_add_f16_e32 v6, v6, v13
	v_fma_f16 v8, v2, s2, v8
	v_fma_f16 v0, v2, s7, v0
	v_add_f16_e32 v3, v3, v4
	v_add_f16_e32 v23, v23, v29
	v_mul_f16_e32 v29, 0x38b4, v87
	v_fma_f16 v2, v6, s6, v8
	v_fma_f16 v0, v6, s6, v0
	v_add_f16_e32 v3, v5, v3
	v_mul_f16_e32 v5, 0x3b9c, v75
	v_mul_f16_e32 v6, 0xb4f2, v83
	;; [unrolled: 1-line block ×3, first 2 shown]
	v_sub_f16_e32 v68, v96, v98
	v_sub_f16_e32 v67, v84, v67
	v_fma_f16 v29, v89, s10, v29
	v_fma_f16 v5, v81, s6, v5
	;; [unrolled: 1-line block ×4, first 2 shown]
	v_add_f16_e32 v61, v23, v64
	v_add_f16_e32 v62, v80, v29
	;; [unrolled: 1-line block ×3, first 2 shown]
	v_sub_f16_e32 v3, v11, v3
	v_add_f16_e32 v11, v2, v5
	v_sub_f16_e32 v2, v2, v5
	v_add_f16_e32 v5, v0, v6
	;; [unrolled: 2-line block ×3, first 2 shown]
	v_sub_f16_e32 v7, v7, v8
	v_pack_b32_f16 v8, v68, v67
	v_sub_f16_e32 v23, v64, v23
	v_sub_f16_e32 v29, v80, v29
	ds_write_b32 v85, v8 offset:16
	v_pack_b32_f16 v8, v63, v33
	v_pack_b32_f16 v12, v61, v62
	ds_write2_b32 v92, v12, v8 offset1:1
	v_pack_b32_f16 v8, v29, v15
	v_pack_b32_f16 v12, v35, v23
	;; [unrolled: 1-line block ×4, first 2 shown]
	s_movk_i32 s12, 0xcd
	ds_write2_b32 v85, v101, v99 offset1:1
	ds_write2_b32 v71, v12, v8 offset1:1
	ds_write_b32 v85, v1 offset:2416
	ds_write_b32 v19, v0 offset:16
	v_mul_lo_u16_sdwa v0, v18, s12 dst_sel:DWORD dst_unused:UNUSED_PAD src0_sel:BYTE_0 src1_sel:DWORD
	v_mul_f16_e32 v4, 0x38b4, v86
	v_lshrrev_b16_e32 v22, 11, v0
	v_fma_f16 v4, v90, s10, v4
	v_mul_lo_u16_e32 v0, 10, v22
	v_add_f16_e32 v10, v60, v4
	v_sub_u16_e32 v23, v18, v0
	v_mov_b32_e32 v8, 9
	v_sub_f16_e32 v4, v60, v4
	v_pack_b32_f16 v1, v11, v5
	v_pack_b32_f16 v5, v9, v10
	v_mul_u32_u24_sdwa v0, v23, v8 dst_sel:DWORD dst_unused:UNUSED_PAD src0_sel:BYTE_0 src1_sel:DWORD
	ds_write2_b32 v19, v5, v1 offset1:1
	v_pack_b32_f16 v1, v4, v2
	v_pack_b32_f16 v2, v6, v3
	v_lshlrev_b32_e32 v60, 2, v0
	ds_write2_b32 v19, v2, v1 offset0:2 offset1:3
	s_waitcnt lgkmcnt(0)
	s_barrier
	global_load_dwordx4 v[4:7], v60, s[4:5]
	global_load_dwordx4 v[0:3], v60, s[4:5] offset:16
	v_add_u16_e32 v29, 0x78, v18
	v_mul_lo_u16_sdwa v9, v29, s12 dst_sel:DWORD dst_unused:UNUSED_PAD src0_sel:BYTE_0 src1_sel:DWORD
	v_lshrrev_b16_e32 v33, 11, v9
	v_mul_lo_u16_e32 v9, 10, v33
	v_sub_u16_e32 v35, v29, v9
	v_mul_u32_u24_sdwa v8, v35, v8 dst_sel:DWORD dst_unused:UNUSED_PAD src0_sel:BYTE_0 src1_sel:DWORD
	v_lshlrev_b32_e32 v62, 2, v8
	global_load_dwordx4 v[8:11], v62, s[4:5]
	ds_read_u16 v66, v27
	ds_read_u16 v65, v24 offset:2160
	ds_read_u16 v61, v24 offset:1920
	global_load_dwordx4 v[12:15], v62, s[4:5] offset:16
	ds_read_u16 v64, v24 offset:1680
	ds_read_u16 v67, v24 offset:1440
	;; [unrolled: 1-line block ×3, first 2 shown]
	ds_read_u16 v68, v28
	ds_read_u16 v73, v24 offset:6960
	s_mov_b32 s12, 0xcccd
	v_mul_u32_u24_e32 v22, 0xc8, v22
	s_waitcnt vmcnt(3) lgkmcnt(7)
	v_mul_f16_sdwa v69, v66, v4 dst_sel:DWORD dst_unused:UNUSED_PAD src0_sel:DWORD src1_sel:WORD_1
	v_fma_f16 v82, v59, v4, v69
	v_mul_f16_sdwa v59, v59, v4 dst_sel:DWORD dst_unused:UNUSED_PAD src0_sel:DWORD src1_sel:WORD_1
	v_fma_f16 v83, v66, v4, -v59
	s_waitcnt lgkmcnt(3)
	v_mul_f16_sdwa v4, v67, v5 dst_sel:DWORD dst_unused:UNUSED_PAD src0_sel:DWORD src1_sel:WORD_1
	v_fma_f16 v84, v58, v5, v4
	v_mul_u32_u24_sdwa v4, v25, s12 dst_sel:DWORD dst_unused:UNUSED_PAD src0_sel:WORD_0 src1_sel:DWORD
	v_lshrrev_b32_e32 v59, 19, v4
	v_mul_lo_u16_e32 v4, 10, v59
	v_sub_u16_e32 v85, v25, v4
	v_mul_u32_u24_e32 v4, 9, v85
	v_mul_f16_sdwa v58, v58, v5 dst_sel:DWORD dst_unused:UNUSED_PAD src0_sel:DWORD src1_sel:WORD_1
	v_lshlrev_b32_e32 v4, 2, v4
	v_fma_f16 v58, v67, v5, -v58
	v_mul_f16_sdwa v5, v65, v6 dst_sel:DWORD dst_unused:UNUSED_PAD src0_sel:DWORD src1_sel:WORD_1
	global_load_dwordx4 v[74:77], v4, s[4:5]
	v_fma_f16 v86, v56, v6, v5
	v_mul_f16_sdwa v5, v56, v6 dst_sel:DWORD dst_unused:UNUSED_PAD src0_sel:DWORD src1_sel:WORD_1
	v_fma_f16 v56, v65, v6, -v5
	ds_read_u16 v5, v24 offset:2880
	ds_read_u16 v6, v24 offset:3120
	;; [unrolled: 1-line block ×7, first 2 shown]
	global_load_dwordx4 v[78:81], v4, s[4:5] offset:16
	s_waitcnt lgkmcnt(6)
	v_mul_f16_sdwa v67, v5, v7 dst_sel:DWORD dst_unused:UNUSED_PAD src0_sel:DWORD src1_sel:WORD_1
	v_fma_f16 v89, v57, v7, v67
	v_mul_f16_sdwa v57, v57, v7 dst_sel:DWORD dst_unused:UNUSED_PAD src0_sel:DWORD src1_sel:WORD_1
	v_fma_f16 v57, v5, v7, -v57
	s_waitcnt vmcnt(4) lgkmcnt(2)
	v_mul_f16_sdwa v5, v66, v0 dst_sel:DWORD dst_unused:UNUSED_PAD src0_sel:DWORD src1_sel:WORD_1
	v_fma_f16 v90, v55, v0, v5
	v_mul_f16_sdwa v5, v55, v0 dst_sel:DWORD dst_unused:UNUSED_PAD src0_sel:DWORD src1_sel:WORD_1
	v_fma_f16 v55, v66, v0, -v5
	ds_read_u16 v0, v24 offset:4320
	ds_read_u16 v5, v24 offset:4560
	;; [unrolled: 1-line block ×8, first 2 shown]
	s_waitcnt lgkmcnt(7)
	v_mul_f16_sdwa v69, v0, v1 dst_sel:DWORD dst_unused:UNUSED_PAD src0_sel:DWORD src1_sel:WORD_1
	v_fma_f16 v94, v52, v1, v69
	v_mul_f16_sdwa v52, v52, v1 dst_sel:DWORD dst_unused:UNUSED_PAD src0_sel:DWORD src1_sel:WORD_1
	global_load_dword v60, v60, s[4:5] offset:32
	v_fma_f16 v52, v0, v1, -v52
	global_load_dword v96, v62, s[4:5] offset:32
	s_waitcnt lgkmcnt(1)
	v_mul_f16_sdwa v0, v66, v2 dst_sel:DWORD dst_unused:UNUSED_PAD src0_sel:DWORD src1_sel:WORD_1
	v_fma_f16 v95, v54, v2, v0
	v_mul_f16_sdwa v0, v54, v2 dst_sel:DWORD dst_unused:UNUSED_PAD src0_sel:DWORD src1_sel:WORD_1
	v_fma_f16 v54, v66, v2, -v0
	v_mul_f16_sdwa v0, v7, v3 dst_sel:DWORD dst_unused:UNUSED_PAD src0_sel:DWORD src1_sel:WORD_1
	v_fma_f16 v97, v53, v3, v0
	v_mul_f16_sdwa v0, v53, v3 dst_sel:DWORD dst_unused:UNUSED_PAD src0_sel:DWORD src1_sel:WORD_1
	global_load_dword v53, v4, s[4:5] offset:32
	ds_read_u16 v1, v24 offset:960
	v_fma_f16 v98, v7, v3, -v0
	ds_read_u16 v99, v24
	ds_read_u16 v7, v24 offset:240
	s_waitcnt vmcnt(6) lgkmcnt(2)
	v_mul_f16_sdwa v0, v1, v8 dst_sel:DWORD dst_unused:UNUSED_PAD src0_sel:DWORD src1_sel:WORD_1
	v_fma_f16 v100, v47, v8, v0
	v_mul_f16_sdwa v0, v47, v8 dst_sel:DWORD dst_unused:UNUSED_PAD src0_sel:DWORD src1_sel:WORD_1
	v_fma_f16 v4, v1, v8, -v0
	ds_read_u16 v0, v24 offset:2400
	v_mul_f16_sdwa v1, v64, v9 dst_sel:DWORD dst_unused:UNUSED_PAD src0_sel:DWORD src1_sel:WORD_1
	v_fma_f16 v66, v50, v9, v1
	v_mul_f16_sdwa v1, v50, v9 dst_sel:DWORD dst_unused:UNUSED_PAD src0_sel:DWORD src1_sel:WORD_1
	v_fma_f16 v62, v64, v9, -v1
	s_waitcnt lgkmcnt(0)
	v_mul_f16_sdwa v1, v0, v10 dst_sel:DWORD dst_unused:UNUSED_PAD src0_sel:DWORD src1_sel:WORD_1
	v_fma_f16 v47, v45, v10, v1
	v_mul_f16_sdwa v1, v45, v10 dst_sel:DWORD dst_unused:UNUSED_PAD src0_sel:DWORD src1_sel:WORD_1
	v_fma_f16 v8, v0, v10, -v1
	v_mul_f16_sdwa v0, v6, v11 dst_sel:DWORD dst_unused:UNUSED_PAD src0_sel:DWORD src1_sel:WORD_1
	v_fma_f16 v69, v51, v11, v0
	v_mul_f16_sdwa v0, v51, v11 dst_sel:DWORD dst_unused:UNUSED_PAD src0_sel:DWORD src1_sel:WORD_1
	v_fma_f16 v64, v6, v11, -v0
	s_waitcnt vmcnt(5)
	v_mul_f16_sdwa v0, v65, v12 dst_sel:DWORD dst_unused:UNUSED_PAD src0_sel:DWORD src1_sel:WORD_1
	v_fma_f16 v45, v48, v12, v0
	v_mul_f16_sdwa v0, v48, v12 dst_sel:DWORD dst_unused:UNUSED_PAD src0_sel:DWORD src1_sel:WORD_1
	v_fma_f16 v11, v65, v12, -v0
	v_mul_f16_sdwa v0, v5, v13 dst_sel:DWORD dst_unused:UNUSED_PAD src0_sel:DWORD src1_sel:WORD_1
	v_fma_f16 v71, v44, v13, v0
	v_mul_f16_sdwa v0, v44, v13 dst_sel:DWORD dst_unused:UNUSED_PAD src0_sel:DWORD src1_sel:WORD_1
	v_fma_f16 v65, v5, v13, -v0
	;; [unrolled: 4-line block ×4, first 2 shown]
	ds_read_u16 v13, v24 offset:6240
	v_sub_f16_e32 v48, v57, v52
	v_sub_f16_e32 v49, v94, v97
	;; [unrolled: 1-line block ×3, first 2 shown]
	s_waitcnt vmcnt(4)
	v_mul_f16_sdwa v0, v63, v74 dst_sel:DWORD dst_unused:UNUSED_PAD src0_sel:DWORD src1_sel:WORD_1
	v_fma_f16 v46, v42, v74, v0
	v_mul_f16_sdwa v0, v42, v74 dst_sel:DWORD dst_unused:UNUSED_PAD src0_sel:DWORD src1_sel:WORD_1
	v_mul_f16_sdwa v3, v87, v77 dst_sel:DWORD dst_unused:UNUSED_PAD src0_sel:DWORD src1_sel:WORD_1
	v_fma_f16 v0, v63, v74, -v0
	s_waitcnt vmcnt(3)
	v_mul_f16_sdwa v6, v93, v79 dst_sel:DWORD dst_unused:UNUSED_PAD src0_sel:DWORD src1_sel:WORD_1
	v_fma_f16 v12, v40, v77, v3
	v_mul_f16_sdwa v3, v40, v77 dst_sel:DWORD dst_unused:UNUSED_PAD src0_sel:DWORD src1_sel:WORD_1
	v_fma_f16 v63, v41, v79, v6
	v_mul_f16_sdwa v6, v41, v79 dst_sel:DWORD dst_unused:UNUSED_PAD src0_sel:DWORD src1_sel:WORD_1
	v_fma_f16 v5, v87, v77, -v3
	v_mul_f16_sdwa v3, v70, v78 dst_sel:DWORD dst_unused:UNUSED_PAD src0_sel:DWORD src1_sel:WORD_1
	v_fma_f16 v9, v93, v79, -v6
	v_mul_f16_sdwa v6, v92, v80 dst_sel:DWORD dst_unused:UNUSED_PAD src0_sel:DWORD src1_sel:WORD_1
	v_fma_f16 v40, v36, v78, v3
	v_mul_f16_sdwa v3, v36, v78 dst_sel:DWORD dst_unused:UNUSED_PAD src0_sel:DWORD src1_sel:WORD_1
	v_fma_f16 v36, v37, v80, v6
	v_mul_f16_sdwa v6, v37, v80 dst_sel:DWORD dst_unused:UNUSED_PAD src0_sel:DWORD src1_sel:WORD_1
	ds_read_u16 v15, v24 offset:6720
	ds_read_u16 v37, v24 offset:6480
	s_waitcnt lgkmcnt(2)
	v_mul_f16_sdwa v41, v13, v81 dst_sel:DWORD dst_unused:UNUSED_PAD src0_sel:DWORD src1_sel:WORD_1
	v_fma_f16 v3, v70, v78, -v3
	v_fma_f16 v70, v38, v81, v41
	v_mul_f16_sdwa v38, v38, v81 dst_sel:DWORD dst_unused:UNUSED_PAD src0_sel:DWORD src1_sel:WORD_1
	v_fma_f16 v13, v13, v81, -v38
	s_waitcnt vmcnt(2) lgkmcnt(0)
	v_mul_f16_sdwa v38, v37, v60 dst_sel:DWORD dst_unused:UNUSED_PAD src0_sel:DWORD src1_sel:WORD_1
	v_fma_f16 v38, v34, v60, v38
	v_mul_f16_sdwa v34, v34, v60 dst_sel:DWORD dst_unused:UNUSED_PAD src0_sel:DWORD src1_sel:WORD_1
	v_fma_f16 v34, v37, v60, -v34
	s_waitcnt vmcnt(1)
	v_mul_f16_sdwa v37, v15, v96 dst_sel:DWORD dst_unused:UNUSED_PAD src0_sel:DWORD src1_sel:WORD_1
	v_fma_f16 v37, v32, v96, v37
	v_mul_f16_sdwa v32, v32, v96 dst_sel:DWORD dst_unused:UNUSED_PAD src0_sel:DWORD src1_sel:WORD_1
	v_fma_f16 v74, v15, v96, -v32
	s_waitcnt vmcnt(0)
	v_mul_f16_sdwa v15, v73, v53 dst_sel:DWORD dst_unused:UNUSED_PAD src0_sel:DWORD src1_sel:WORD_1
	v_mul_f16_sdwa v1, v61, v75 dst_sel:DWORD dst_unused:UNUSED_PAD src0_sel:DWORD src1_sel:WORD_1
	v_fma_f16 v32, v31, v53, v15
	v_mul_f16_sdwa v15, v31, v53 dst_sel:DWORD dst_unused:UNUSED_PAD src0_sel:DWORD src1_sel:WORD_1
	v_sub_f16_e32 v31, v84, v89
	v_sub_f16_e32 v41, v97, v94
	v_fma_f16 v10, v39, v75, v1
	v_mul_f16_sdwa v1, v39, v75 dst_sel:DWORD dst_unused:UNUSED_PAD src0_sel:DWORD src1_sel:WORD_1
	v_add_f16_e32 v31, v31, v41
	v_add_f16_e32 v41, v89, v94
	v_fma_f16 v2, v61, v75, -v1
	v_mul_f16_sdwa v1, v88, v76 dst_sel:DWORD dst_unused:UNUSED_PAD src0_sel:DWORD src1_sel:WORD_1
	v_fma_f16 v41, v41, -0.5, v30
	v_sub_f16_e32 v42, v58, v98
	v_fma_f16 v39, v43, v76, v1
	v_mul_f16_sdwa v1, v43, v76 dst_sel:DWORD dst_unused:UNUSED_PAD src0_sel:DWORD src1_sel:WORD_1
	v_fma_f16 v43, v42, s8, v41
	v_fma_f16 v41, v42, s3, v41
	;; [unrolled: 1-line block ×6, first 2 shown]
	v_sub_f16_e32 v41, v89, v84
	v_add_f16_e32 v41, v41, v49
	v_add_f16_e32 v49, v84, v97
	v_fma_f16 v49, v49, -0.5, v30
	v_fma_f16 v50, v48, s3, v49
	v_fma_f16 v48, v48, s8, v49
	;; [unrolled: 1-line block ×3, first 2 shown]
	v_sub_f16_e32 v50, v58, v57
	v_fma_f16 v42, v42, s2, v48
	v_add_f16_e32 v50, v50, v51
	v_add_f16_e32 v51, v57, v52
	v_fma_f16 v48, v41, s6, v49
	v_fma_f16 v41, v41, s6, v42
	v_sub_f16_e32 v42, v84, v97
	v_fma_f16 v51, v51, -0.5, v99
	v_fma_f16 v15, v73, v53, -v15
	v_sub_f16_e32 v49, v89, v94
	v_fma_f16 v53, v42, s3, v51
	v_fma_f16 v51, v42, s8, v51
	;; [unrolled: 1-line block ×4, first 2 shown]
	v_add_f16_e32 v60, v99, v58
	v_fma_f16 v53, v50, s6, v53
	v_fma_f16 v50, v50, s6, v51
	v_add_f16_e32 v51, v58, v98
	v_add_f16_e32 v60, v60, v57
	v_fma_f16 v51, v51, -0.5, v99
	v_sub_f16_e32 v57, v57, v58
	v_add_f16_e32 v58, v60, v52
	v_sub_f16_e32 v52, v52, v98
	v_add_f16_e32 v52, v57, v52
	v_fma_f16 v57, v49, s8, v51
	v_fma_f16 v49, v49, s3, v51
	;; [unrolled: 1-line block ×6, first 2 shown]
	v_sub_f16_e32 v51, v86, v90
	v_sub_f16_e32 v52, v38, v95
	v_add_f16_e32 v51, v51, v52
	v_add_f16_e32 v52, v90, v95
	v_fma_f16 v52, v52, -0.5, v82
	v_sub_f16_e32 v57, v56, v34
	v_fma_f16 v60, v57, s8, v52
	v_sub_f16_e32 v61, v55, v54
	v_fma_f16 v52, v57, s3, v52
	v_fma_f16 v60, v61, s7, v60
	;; [unrolled: 1-line block ×5, first 2 shown]
	v_sub_f16_e32 v52, v90, v86
	v_sub_f16_e32 v73, v95, v38
	v_add_f16_e32 v52, v52, v73
	v_add_f16_e32 v73, v86, v38
	v_fma_f16 v73, v73, -0.5, v82
	v_fma_f16 v75, v61, s3, v73
	v_fma_f16 v61, v61, s8, v73
	v_fma_f16 v73, v57, s7, v75
	v_fma_f16 v57, v57, s2, v61
	v_fma_f16 v61, v52, s6, v73
	v_fma_f16 v52, v52, s6, v57
	v_add_f16_e32 v57, v82, v86
	v_fma_f16 v1, v88, v76, -v1
	v_add_f16_e32 v57, v57, v90
	v_sub_f16_e32 v75, v56, v55
	v_sub_f16_e32 v76, v34, v54
	v_add_f16_e32 v57, v57, v95
	v_add_f16_e32 v75, v75, v76
	;; [unrolled: 1-line block ×4, first 2 shown]
	v_sub_f16_e32 v38, v86, v38
	v_fma_f16 v76, v76, -0.5, v83
	v_sub_f16_e32 v73, v90, v95
	v_fma_f16 v77, v38, s3, v76
	v_fma_f16 v76, v38, s8, v76
	v_add_f16_e32 v78, v83, v56
	v_fma_f16 v77, v73, s2, v77
	v_fma_f16 v76, v73, s7, v76
	v_add_f16_e32 v78, v78, v55
	;; [unrolled: 3-line block ×3, first 2 shown]
	v_sub_f16_e32 v55, v55, v56
	v_add_f16_e32 v56, v78, v54
	v_fma_f16 v76, v76, -0.5, v83
	v_add_f16_e32 v56, v56, v34
	v_sub_f16_e32 v34, v54, v34
	v_add_f16_e32 v34, v55, v34
	v_fma_f16 v54, v73, s8, v76
	v_fma_f16 v55, v73, s3, v76
	;; [unrolled: 1-line block ×6, first 2 shown]
	v_mul_f16_e32 v38, 0xb8b4, v77
	v_mul_f16_e32 v55, 0x3a79, v77
	v_add_f16_e32 v30, v30, v84
	v_fma_f16 v38, v60, s10, v38
	v_fma_f16 v55, v60, s2, v55
	v_mul_f16_e32 v60, 0xbb9c, v54
	v_mul_f16_e32 v54, 0x34f2, v54
	v_add_f16_e32 v30, v30, v89
	v_fma_f16 v60, v61, s6, v60
	v_fma_f16 v54, v61, s3, v54
	;; [unrolled: 5-line block ×3, first 2 shown]
	v_mul_f16_e32 v52, 0xb8b4, v75
	v_add_f16_e32 v30, v30, v97
	v_fma_f16 v52, v51, s11, v52
	v_mul_f16_e32 v73, 0xba79, v75
	v_fma_f16 v51, v51, s2, v73
	v_add_f16_e32 v73, v30, v57
	v_sub_f16_e32 v30, v30, v57
	v_add_f16_e32 v57, v43, v38
	v_sub_f16_e32 v38, v43, v38
	;; [unrolled: 2-line block ×6, first 2 shown]
	v_sub_f16_e32 v31, v66, v69
	v_sub_f16_e32 v34, v72, v71
	v_add_f16_e32 v31, v31, v34
	v_add_f16_e32 v34, v69, v71
	v_fma_f16 v34, v34, -0.5, v21
	v_sub_f16_e32 v42, v62, v67
	v_fma_f16 v6, v92, v80, -v6
	v_add_f16_e32 v79, v49, v54
	v_sub_f16_e32 v80, v49, v54
	v_add_f16_e32 v83, v50, v51
	v_sub_f16_e32 v84, v50, v51
	v_fma_f16 v49, v42, s8, v34
	v_sub_f16_e32 v50, v64, v65
	v_fma_f16 v34, v42, s3, v34
	v_fma_f16 v49, v50, s7, v49
	;; [unrolled: 1-line block ×5, first 2 shown]
	v_sub_f16_e32 v34, v69, v66
	v_sub_f16_e32 v51, v71, v72
	v_add_f16_e32 v34, v34, v51
	v_add_f16_e32 v51, v66, v72
	v_fma_f16 v51, v51, -0.5, v21
	v_add_f16_e32 v77, v53, v55
	v_sub_f16_e32 v78, v53, v55
	v_fma_f16 v53, v50, s3, v51
	v_fma_f16 v50, v50, s8, v51
	;; [unrolled: 1-line block ×6, first 2 shown]
	v_sub_f16_e32 v42, v47, v45
	v_sub_f16_e32 v51, v37, v44
	v_add_f16_e32 v42, v42, v51
	v_add_f16_e32 v51, v45, v44
	v_fma_f16 v51, v51, -0.5, v100
	v_sub_f16_e32 v53, v8, v74
	v_fma_f16 v54, v53, s8, v51
	v_sub_f16_e32 v55, v11, v14
	v_fma_f16 v51, v53, s3, v51
	v_fma_f16 v54, v55, s7, v54
	;; [unrolled: 1-line block ×5, first 2 shown]
	v_sub_f16_e32 v42, v45, v47
	v_sub_f16_e32 v51, v44, v37
	v_add_f16_e32 v42, v42, v51
	v_add_f16_e32 v51, v47, v37
	v_fma_f16 v51, v51, -0.5, v100
	v_fma_f16 v54, v55, s3, v51
	v_fma_f16 v51, v55, s8, v51
	;; [unrolled: 1-line block ×6, first 2 shown]
	v_add_f16_e32 v42, v100, v47
	v_add_f16_e32 v42, v42, v45
	;; [unrolled: 1-line block ×4, first 2 shown]
	v_sub_f16_e32 v37, v47, v37
	v_sub_f16_e32 v44, v45, v44
	;; [unrolled: 1-line block ×4, first 2 shown]
	v_add_f16_e32 v45, v45, v47
	v_add_f16_e32 v47, v11, v14
	v_fma_f16 v47, v47, -0.5, v4
	v_fma_f16 v51, v37, s3, v47
	v_fma_f16 v47, v37, s8, v47
	;; [unrolled: 1-line block ×6, first 2 shown]
	v_sub_f16_e32 v45, v11, v8
	v_sub_f16_e32 v47, v14, v74
	v_add_f16_e32 v45, v45, v47
	v_add_f16_e32 v47, v8, v74
	;; [unrolled: 1-line block ×3, first 2 shown]
	v_fma_f16 v47, v47, -0.5, v4
	v_add_f16_e32 v21, v21, v69
	v_fma_f16 v51, v44, s8, v47
	v_fma_f16 v44, v44, s3, v47
	v_add_f16_e32 v21, v21, v71
	v_fma_f16 v47, v37, s2, v51
	v_fma_f16 v37, v37, s7, v44
	v_add_f16_e32 v21, v21, v72
	v_fma_f16 v93, v45, s6, v37
	v_add_f16_e32 v37, v21, v42
	v_sub_f16_e32 v21, v21, v42
	v_mul_f16_e32 v42, 0xb8b4, v90
	v_fma_f16 v92, v45, s6, v47
	v_fma_f16 v42, v86, s10, v42
	v_add_f16_e32 v44, v49, v42
	v_sub_f16_e32 v42, v49, v42
	v_mul_f16_e32 v45, 0xbb9c, v92
	v_mul_f16_e32 v49, 0xbb9c, v93
	v_fma_f16 v45, v88, s6, v45
	v_fma_f16 v49, v89, s9, v49
	v_add_f16_e32 v47, v50, v45
	v_sub_f16_e32 v45, v50, v45
	v_add_f16_e32 v50, v34, v49
	v_sub_f16_e32 v34, v34, v49
	v_mul_f16_e32 v49, 0xb8b4, v91
	v_fma_f16 v49, v87, s11, v49
	v_add_f16_e32 v51, v31, v49
	v_sub_f16_e32 v49, v31, v49
	v_mov_b32_e32 v31, 1
	v_lshlrev_b32_sdwa v23, v31, v23 dst_sel:DWORD dst_unused:UNUSED_PAD src0_sel:DWORD src1_sel:BYTE_0
	v_add3_u32 v22, 0, v22, v23
	v_mul_u32_u24_e32 v23, 0xc8, v33
	v_lshlrev_b32_sdwa v33, v31, v35 dst_sel:DWORD dst_unused:UNUSED_PAD src0_sel:DWORD src1_sel:BYTE_0
	v_add3_u32 v94, 0, v23, v33
	v_sub_f16_e32 v23, v10, v12
	v_sub_f16_e32 v33, v70, v63
	v_add_f16_e32 v23, v23, v33
	v_add_f16_e32 v33, v12, v63
	v_fma_f16 v33, v33, -0.5, v20
	v_sub_f16_e32 v35, v2, v13
	v_fma_f16 v53, v35, s8, v33
	v_sub_f16_e32 v54, v5, v9
	v_fma_f16 v33, v35, s3, v33
	v_fma_f16 v53, v54, s7, v53
	;; [unrolled: 1-line block ×5, first 2 shown]
	v_sub_f16_e32 v33, v12, v10
	v_sub_f16_e32 v55, v63, v70
	v_add_f16_e32 v33, v33, v55
	v_add_f16_e32 v55, v10, v70
	;; [unrolled: 1-line block ×3, first 2 shown]
	v_fma_f16 v55, v55, -0.5, v20
	v_add_f16_e32 v75, v58, v56
	v_sub_f16_e32 v76, v58, v56
	v_fma_f16 v56, v54, s3, v55
	v_fma_f16 v54, v54, s8, v55
	;; [unrolled: 1-line block ×6, first 2 shown]
	v_sub_f16_e32 v35, v39, v40
	v_sub_f16_e32 v55, v32, v36
	v_add_f16_e32 v35, v35, v55
	v_add_f16_e32 v55, v40, v36
	v_fma_f16 v55, v55, -0.5, v46
	v_sub_f16_e32 v56, v1, v15
	v_fma_f16 v58, v56, s8, v55
	v_sub_f16_e32 v95, v3, v6
	v_fma_f16 v55, v56, s3, v55
	v_fma_f16 v58, v95, s7, v58
	;; [unrolled: 1-line block ×5, first 2 shown]
	v_sub_f16_e32 v35, v40, v39
	v_sub_f16_e32 v55, v36, v32
	v_add_f16_e32 v35, v35, v55
	v_add_f16_e32 v55, v39, v32
	v_fma_f16 v55, v55, -0.5, v46
	v_fma_f16 v58, v95, s3, v55
	v_fma_f16 v55, v95, s8, v55
	;; [unrolled: 1-line block ×6, first 2 shown]
	v_add_f16_e32 v35, v46, v39
	v_add_f16_e32 v35, v35, v40
	v_add_f16_e32 v35, v35, v36
	v_add_f16_e32 v35, v35, v32
	v_sub_f16_e32 v32, v39, v32
	v_sub_f16_e32 v36, v40, v36
	;; [unrolled: 1-line block ×4, first 2 shown]
	v_add_f16_e32 v39, v39, v40
	v_add_f16_e32 v40, v3, v6
	v_fma_f16 v40, v40, -0.5, v0
	v_fma_f16 v46, v32, s3, v40
	v_fma_f16 v40, v32, s8, v40
	;; [unrolled: 1-line block ×6, first 2 shown]
	v_sub_f16_e32 v39, v3, v1
	v_sub_f16_e32 v40, v6, v15
	v_add_f16_e32 v39, v39, v40
	v_add_f16_e32 v40, v1, v15
	v_fma_f16 v40, v40, -0.5, v0
	v_add_f16_e32 v20, v20, v10
	v_fma_f16 v46, v36, s8, v40
	v_fma_f16 v36, v36, s3, v40
	v_add_f16_e32 v20, v20, v12
	v_fma_f16 v40, v32, s2, v46
	v_fma_f16 v32, v32, s7, v36
	v_add_f16_e32 v20, v20, v63
	v_fma_f16 v102, v39, s6, v32
	v_add_f16_e32 v20, v20, v70
	v_add_f16_e32 v32, v20, v35
	v_sub_f16_e32 v20, v20, v35
	v_mul_f16_e32 v35, 0xb8b4, v99
	v_mul_f16_e32 v46, 0xbb9c, v102
	v_fma_f16 v101, v39, s6, v40
	v_fma_f16 v35, v96, s10, v35
	;; [unrolled: 1-line block ×3, first 2 shown]
	v_add_f16_e32 v36, v53, v35
	v_sub_f16_e32 v35, v53, v35
	v_mul_f16_e32 v39, 0xbb9c, v101
	v_add_f16_e32 v53, v33, v46
	v_sub_f16_e32 v33, v33, v46
	v_mul_f16_e32 v46, 0xb8b4, v100
	v_fma_f16 v39, v95, s6, v39
	v_fma_f16 v46, v97, s11, v46
	s_barrier
	ds_write_b16 v22, v73
	ds_write_b16 v22, v57 offset:20
	ds_write_b16 v22, v43 offset:40
	;; [unrolled: 1-line block ×9, first 2 shown]
	ds_write_b16 v94, v37
	ds_write_b16 v94, v44 offset:20
	ds_write_b16 v94, v47 offset:40
	;; [unrolled: 1-line block ×9, first 2 shown]
	v_mul_u32_u24_e32 v21, 0xc8, v59
	v_lshlrev_b32_e32 v30, 1, v85
	v_add_f16_e32 v40, v54, v39
	v_sub_f16_e32 v39, v54, v39
	v_add_f16_e32 v54, v23, v46
	v_sub_f16_e32 v23, v23, v46
	v_add3_u32 v73, 0, v21, v30
	ds_write_b16 v73, v32
	ds_write_b16 v73, v36 offset:20
	ds_write_b16 v73, v40 offset:40
	;; [unrolled: 1-line block ×9, first 2 shown]
	s_waitcnt lgkmcnt(0)
	s_barrier
	v_lshl_add_u32 v30, v18, 1, 0
	ds_read_u16 v36, v24
	ds_read_u16 v48, v24 offset:1680
	ds_read_u16 v43, v24 offset:1920
	;; [unrolled: 1-line block ×25, first 2 shown]
	ds_read_u16 v34, v28
	ds_read_u16 v32, v30 offset:960
	ds_read_u16 v33, v27
	ds_read_u16 v39, v24 offset:6960
	s_waitcnt lgkmcnt(0)
	s_barrier
	ds_write_b16 v22, v75
	ds_write_b16 v22, v77 offset:20
	ds_write_b16 v22, v79 offset:40
	;; [unrolled: 1-line block ×9, first 2 shown]
	v_sub_f16_e32 v22, v62, v64
	v_sub_f16_e32 v23, v67, v65
	v_add_f16_e32 v22, v22, v23
	v_add_f16_e32 v23, v64, v65
	v_sub_f16_e32 v20, v66, v72
	v_fma_f16 v23, v23, -0.5, v7
	v_sub_f16_e32 v21, v69, v71
	v_fma_f16 v66, v20, s3, v23
	v_fma_f16 v23, v20, s8, v23
	v_fma_f16 v66, v21, s2, v66
	v_fma_f16 v23, v21, s7, v23
	v_fma_f16 v66, v22, s6, v66
	v_fma_f16 v22, v22, s6, v23
	v_add_f16_e32 v23, v62, v67
	v_fma_f16 v23, v23, -0.5, v7
	v_add_f16_e32 v7, v7, v62
	v_add_f16_e32 v7, v7, v64
	v_sub_f16_e32 v62, v64, v62
	v_sub_f16_e32 v64, v65, v67
	v_add_f16_e32 v62, v62, v64
	v_fma_f16 v64, v21, s8, v23
	v_add_f16_e32 v4, v4, v8
	v_fma_f16 v21, v21, s3, v23
	v_fma_f16 v23, v20, s2, v64
	v_add_f16_e32 v4, v4, v11
	v_fma_f16 v20, v20, s7, v21
	v_fma_f16 v21, v62, s6, v23
	v_add_f16_e32 v4, v4, v14
	v_mul_f16_e32 v11, 0x34f2, v92
	v_mul_f16_e32 v14, 0xb4f2, v93
	;; [unrolled: 1-line block ×3, first 2 shown]
	v_fma_f16 v20, v62, s6, v20
	v_fma_f16 v11, v88, s3, v11
	;; [unrolled: 1-line block ×4, first 2 shown]
	v_add_f16_e32 v7, v7, v65
	v_add_f16_e32 v64, v21, v11
	v_sub_f16_e32 v11, v21, v11
	v_add_f16_e32 v21, v20, v14
	v_sub_f16_e32 v14, v20, v14
	;; [unrolled: 2-line block ×3, first 2 shown]
	v_sub_f16_e32 v22, v2, v5
	v_sub_f16_e32 v23, v13, v9
	v_add_f16_e32 v22, v22, v23
	v_add_f16_e32 v23, v5, v9
	v_mul_f16_e32 v8, 0x3a79, v90
	v_sub_f16_e32 v10, v10, v70
	v_fma_f16 v23, v23, -0.5, v68
	v_add_f16_e32 v7, v7, v67
	v_add_f16_e32 v4, v4, v74
	v_fma_f16 v8, v86, s2, v8
	v_sub_f16_e32 v12, v12, v63
	v_fma_f16 v63, v10, s3, v23
	v_fma_f16 v23, v10, s8, v23
	v_add_f16_e32 v62, v7, v4
	v_sub_f16_e32 v4, v7, v4
	v_add_f16_e32 v7, v66, v8
	v_sub_f16_e32 v8, v66, v8
	v_fma_f16 v63, v12, s2, v63
	v_fma_f16 v23, v12, s7, v23
	v_add_f16_e32 v66, v68, v2
	v_fma_f16 v63, v22, s6, v63
	v_fma_f16 v22, v22, s6, v23
	v_add_f16_e32 v23, v2, v13
	v_add_f16_e32 v66, v66, v5
	v_fma_f16 v23, v23, -0.5, v68
	v_sub_f16_e32 v2, v5, v2
	v_add_f16_e32 v5, v66, v9
	v_sub_f16_e32 v9, v9, v13
	v_add_f16_e32 v2, v2, v9
	v_fma_f16 v9, v12, s8, v23
	v_fma_f16 v12, v12, s3, v23
	;; [unrolled: 1-line block ×6, first 2 shown]
	v_add_f16_e32 v0, v0, v1
	v_mul_f16_e32 v1, 0x3a79, v99
	v_mul_f16_e32 v10, 0xba79, v100
	v_fma_f16 v1, v96, s2, v1
	v_fma_f16 v10, v97, s2, v10
	s_movk_i32 s2, 0x64
	v_add_f16_e32 v0, v0, v3
	ds_write_b16 v94, v62
	ds_write_b16 v94, v7 offset:20
	ds_write_b16 v94, v64 offset:40
	;; [unrolled: 1-line block ×3, first 2 shown]
	v_add_u32_e32 v7, 0xffffff9c, v18
	v_cmp_gt_u32_e32 vcc, s2, v18
	v_add_f16_e32 v0, v0, v6
	v_mul_f16_e32 v3, 0x34f2, v101
	v_mul_f16_e32 v6, 0xb4f2, v102
	v_cndmask_b32_e32 v62, v7, v18, vcc
	v_add_f16_e32 v5, v5, v13
	v_add_f16_e32 v0, v0, v15
	v_fma_f16 v3, v95, s3, v3
	v_fma_f16 v6, v98, s3, v6
	ds_write_b16 v94, v20 offset:80
	ds_write_b16 v94, v4 offset:100
	v_mul_i32_i24_e32 v20, 5, v62
	v_mov_b32_e32 v21, 0
	v_add_f16_e32 v12, v5, v0
	v_sub_f16_e32 v0, v5, v0
	v_add_f16_e32 v5, v63, v1
	v_sub_f16_e32 v1, v63, v1
	;; [unrolled: 2-line block ×5, first 2 shown]
	v_lshl_add_u64 v[22:23], v[20:21], 2, s[4:5]
	ds_write_b16 v94, v8 offset:120
	ds_write_b16 v94, v11 offset:140
	;; [unrolled: 1-line block ×4, first 2 shown]
	ds_write_b16 v73, v12
	ds_write_b16 v73, v5 offset:20
	ds_write_b16 v73, v13 offset:40
	;; [unrolled: 1-line block ×9, first 2 shown]
	s_waitcnt lgkmcnt(0)
	s_barrier
	global_load_dwordx4 v[0:3], v[22:23], off offset:360
	v_mov_b32_e32 v4, 41
	v_mul_lo_u16_sdwa v4, v29, v4 dst_sel:DWORD dst_unused:UNUSED_PAD src0_sel:BYTE_0 src1_sel:DWORD
	v_lshrrev_b16_e32 v65, 12, v4
	v_mul_lo_u16_e32 v4, 0x64, v65
	v_sub_u16_e32 v66, v29, v4
	v_mov_b32_e32 v4, 5
	v_mul_u32_u24_sdwa v4, v66, v4 dst_sel:DWORD dst_unused:UNUSED_PAD src0_sel:BYTE_0 src1_sel:DWORD
	v_lshlrev_b32_e32 v67, 2, v4
	global_load_dwordx4 v[4:7], v67, s[4:5] offset:360
	v_lshrrev_b16_e32 v8, 2, v25
	v_lshrrev_b16_e32 v12, 2, v26
	v_mul_u32_u24_e32 v8, 0x147b, v8
	v_mul_u32_u24_e32 v12, 0x147b, v12
	v_lshrrev_b32_e32 v29, 17, v8
	v_lshrrev_b32_e32 v64, 17, v12
	v_mul_lo_u16_e32 v8, 0x64, v29
	v_mul_lo_u16_e32 v12, 0x64, v64
	v_sub_u16_e32 v20, v25, v8
	v_sub_u16_e32 v63, v26, v12
	v_mul_u32_u24_e32 v8, 5, v20
	v_mul_u32_u24_e32 v12, 5, v63
	v_lshlrev_b32_e32 v68, 2, v8
	global_load_dwordx4 v[8:11], v68, s[4:5] offset:360
	v_lshlrev_b32_e32 v69, 2, v12
	global_load_dwordx4 v[12:15], v69, s[4:5] offset:360
	ds_read_u16 v73, v24 offset:1200
	ds_read_u16 v71, v24 offset:1440
	;; [unrolled: 1-line block ×6, first 2 shown]
	global_load_dword v23, v[22:23], off offset:376
	ds_read_u16 v80, v24
	ds_read_u16 v81, v24 offset:240
	s_movk_i32 s2, 0x63
	v_cmp_lt_u32_e32 vcc, s2, v18
	s_mov_b32 s2, 0xbaee
	s_movk_i32 s3, 0x3aee
	s_mov_b32 s6, 0x5040100
	s_waitcnt vmcnt(4) lgkmcnt(7)
	v_mul_f16_sdwa v22, v73, v0 dst_sel:DWORD dst_unused:UNUSED_PAD src0_sel:DWORD src1_sel:WORD_1
	v_fma_f16 v82, v61, v0, v22
	v_mul_f16_sdwa v22, v61, v0 dst_sel:DWORD dst_unused:UNUSED_PAD src0_sel:DWORD src1_sel:WORD_1
	v_fma_f16 v0, v73, v0, -v22
	v_add_u32_e32 v22, 0x1e0, v18
	v_lshrrev_b16_e32 v73, 2, v22
	v_mul_u32_u24_e32 v73, 0x147b, v73
	v_lshrrev_b32_e32 v73, 17, v73
	v_mul_lo_u16_e32 v74, 0x64, v73
	v_sub_u16_e32 v83, v22, v74
	v_mul_u32_u24_e32 v74, 5, v83
	v_lshlrev_b32_e32 v84, 2, v74
	s_waitcnt lgkmcnt(3)
	v_mul_f16_sdwa v61, v79, v1 dst_sel:DWORD dst_unused:UNUSED_PAD src0_sel:DWORD src1_sel:WORD_1
	global_load_dwordx4 v[74:77], v84, s[4:5] offset:360
	v_fma_f16 v61, v58, v1, v61
	v_mul_f16_sdwa v58, v58, v1 dst_sel:DWORD dst_unused:UNUSED_PAD src0_sel:DWORD src1_sel:WORD_1
	v_fma_f16 v1, v79, v1, -v58
	ds_read_u16 v58, v24 offset:3600
	ds_read_u16 v79, v24 offset:3840
	;; [unrolled: 1-line block ×5, first 2 shown]
	s_waitcnt lgkmcnt(4)
	v_mul_f16_sdwa v88, v58, v2 dst_sel:DWORD dst_unused:UNUSED_PAD src0_sel:DWORD src1_sel:WORD_1
	v_fma_f16 v88, v60, v2, v88
	v_mul_f16_sdwa v60, v60, v2 dst_sel:DWORD dst_unused:UNUSED_PAD src0_sel:DWORD src1_sel:WORD_1
	v_fma_f16 v2, v58, v2, -v60
	global_load_dword v58, v67, s[4:5] offset:376
	ds_read_u16 v60, v24 offset:4800
	ds_read_u16 v67, v24 offset:5040
	;; [unrolled: 1-line block ×8, first 2 shown]
	s_waitcnt lgkmcnt(7)
	v_mul_f16_sdwa v95, v60, v3 dst_sel:DWORD dst_unused:UNUSED_PAD src0_sel:DWORD src1_sel:WORD_1
	v_fma_f16 v95, v59, v3, v95
	v_mul_f16_sdwa v59, v59, v3 dst_sel:DWORD dst_unused:UNUSED_PAD src0_sel:DWORD src1_sel:WORD_1
	v_fma_f16 v3, v60, v3, -v59
	s_waitcnt vmcnt(5)
	v_mul_f16_sdwa v60, v71, v4 dst_sel:DWORD dst_unused:UNUSED_PAD src0_sel:DWORD src1_sel:WORD_1
	global_load_dword v68, v68, s[4:5] offset:376
	v_fma_f16 v60, v55, v4, v60
	v_mul_f16_sdwa v55, v55, v4 dst_sel:DWORD dst_unused:UNUSED_PAD src0_sel:DWORD src1_sel:WORD_1
	v_fma_f16 v55, v71, v4, -v55
	global_load_dword v4, v69, s[4:5] offset:376
	ds_read_u16 v59, v24 offset:2640
	ds_read_u16 v69, v24 offset:2880
	;; [unrolled: 1-line block ×3, first 2 shown]
	global_load_dword v84, v84, s[4:5] offset:376
	s_waitcnt lgkmcnt(2)
	v_mul_f16_sdwa v96, v59, v5 dst_sel:DWORD dst_unused:UNUSED_PAD src0_sel:DWORD src1_sel:WORD_1
	v_fma_f16 v96, v54, v5, v96
	v_mul_f16_sdwa v54, v54, v5 dst_sel:DWORD dst_unused:UNUSED_PAD src0_sel:DWORD src1_sel:WORD_1
	v_fma_f16 v54, v59, v5, -v54
	v_mul_f16_sdwa v5, v79, v6 dst_sel:DWORD dst_unused:UNUSED_PAD src0_sel:DWORD src1_sel:WORD_1
	v_fma_f16 v5, v56, v6, v5
	v_mul_f16_sdwa v56, v56, v6 dst_sel:DWORD dst_unused:UNUSED_PAD src0_sel:DWORD src1_sel:WORD_1
	v_fma_f16 v56, v79, v6, -v56
	;; [unrolled: 4-line block ×3, first 2 shown]
	s_waitcnt vmcnt(7)
	v_mul_f16_sdwa v6, v70, v8 dst_sel:DWORD dst_unused:UNUSED_PAD src0_sel:DWORD src1_sel:WORD_1
	v_mul_f16_sdwa v7, v48, v8 dst_sel:DWORD dst_unused:UNUSED_PAD src0_sel:DWORD src1_sel:WORD_1
	v_fma_f16 v6, v48, v8, v6
	v_fma_f16 v48, v70, v8, -v7
	s_waitcnt lgkmcnt(1)
	v_mul_f16_sdwa v7, v69, v9 dst_sel:DWORD dst_unused:UNUSED_PAD src0_sel:DWORD src1_sel:WORD_1
	v_fma_f16 v67, v53, v9, v7
	v_mul_f16_sdwa v7, v53, v9 dst_sel:DWORD dst_unused:UNUSED_PAD src0_sel:DWORD src1_sel:WORD_1
	v_fma_f16 v53, v69, v9, -v7
	v_mul_f16_sdwa v7, v85, v10 dst_sel:DWORD dst_unused:UNUSED_PAD src0_sel:DWORD src1_sel:WORD_1
	v_mul_f16_sdwa v8, v52, v10 dst_sel:DWORD dst_unused:UNUSED_PAD src0_sel:DWORD src1_sel:WORD_1
	v_fma_f16 v7, v52, v10, v7
	v_fma_f16 v52, v85, v10, -v8
	v_mul_f16_sdwa v8, v89, v11 dst_sel:DWORD dst_unused:UNUSED_PAD src0_sel:DWORD src1_sel:WORD_1
	s_waitcnt vmcnt(6)
	v_mul_f16_sdwa v9, v43, v12 dst_sel:DWORD dst_unused:UNUSED_PAD src0_sel:DWORD src1_sel:WORD_1
	v_fma_f16 v69, v51, v11, v8
	v_mul_f16_sdwa v8, v51, v11 dst_sel:DWORD dst_unused:UNUSED_PAD src0_sel:DWORD src1_sel:WORD_1
	v_fma_f16 v70, v78, v12, -v9
	s_waitcnt lgkmcnt(0)
	v_mul_f16_sdwa v9, v71, v13 dst_sel:DWORD dst_unused:UNUSED_PAD src0_sel:DWORD src1_sel:WORD_1
	v_fma_f16 v51, v89, v11, -v8
	v_mul_f16_sdwa v8, v78, v12 dst_sel:DWORD dst_unused:UNUSED_PAD src0_sel:DWORD src1_sel:WORD_1
	v_fma_f16 v78, v49, v13, v9
	v_mul_f16_sdwa v9, v49, v13 dst_sel:DWORD dst_unused:UNUSED_PAD src0_sel:DWORD src1_sel:WORD_1
	v_fma_f16 v49, v71, v13, -v9
	v_mul_f16_sdwa v9, v86, v14 dst_sel:DWORD dst_unused:UNUSED_PAD src0_sel:DWORD src1_sel:WORD_1
	v_mul_f16_sdwa v10, v47, v14 dst_sel:DWORD dst_unused:UNUSED_PAD src0_sel:DWORD src1_sel:WORD_1
	v_fma_f16 v9, v47, v14, v9
	v_fma_f16 v47, v86, v14, -v10
	v_mul_f16_sdwa v10, v90, v15 dst_sel:DWORD dst_unused:UNUSED_PAD src0_sel:DWORD src1_sel:WORD_1
	v_fma_f16 v71, v46, v15, v10
	v_mul_f16_sdwa v10, v46, v15 dst_sel:DWORD dst_unused:UNUSED_PAD src0_sel:DWORD src1_sel:WORD_1
	v_fma_f16 v46, v90, v15, -v10
	v_fma_f16 v8, v43, v12, v8
	s_waitcnt vmcnt(5)
	v_mul_f16_sdwa v13, v42, v23 dst_sel:DWORD dst_unused:UNUSED_PAD src0_sel:DWORD src1_sel:WORD_1
	v_fma_f16 v13, v93, v23, -v13
	s_waitcnt vmcnt(4)
	v_mul_f16_sdwa v11, v40, v74 dst_sel:DWORD dst_unused:UNUSED_PAD src0_sel:DWORD src1_sel:WORD_1
	v_mul_f16_sdwa v10, v72, v74 dst_sel:DWORD dst_unused:UNUSED_PAD src0_sel:DWORD src1_sel:WORD_1
	v_fma_f16 v72, v72, v74, -v11
	v_mul_f16_sdwa v11, v87, v75 dst_sel:DWORD dst_unused:UNUSED_PAD src0_sel:DWORD src1_sel:WORD_1
	v_fma_f16 v10, v40, v74, v10
	v_fma_f16 v74, v45, v75, v11
	v_mul_f16_sdwa v11, v45, v75 dst_sel:DWORD dst_unused:UNUSED_PAD src0_sel:DWORD src1_sel:WORD_1
	v_fma_f16 v45, v87, v75, -v11
	v_mul_f16_sdwa v11, v94, v76 dst_sel:DWORD dst_unused:UNUSED_PAD src0_sel:DWORD src1_sel:WORD_1
	v_mul_f16_sdwa v12, v50, v76 dst_sel:DWORD dst_unused:UNUSED_PAD src0_sel:DWORD src1_sel:WORD_1
	v_fma_f16 v11, v50, v76, v11
	v_fma_f16 v50, v94, v76, -v12
	v_mul_f16_sdwa v12, v91, v77 dst_sel:DWORD dst_unused:UNUSED_PAD src0_sel:DWORD src1_sel:WORD_1
	v_fma_f16 v75, v44, v77, v12
	v_mul_f16_sdwa v12, v44, v77 dst_sel:DWORD dst_unused:UNUSED_PAD src0_sel:DWORD src1_sel:WORD_1
	v_fma_f16 v76, v91, v77, -v12
	v_mul_f16_sdwa v12, v93, v23 dst_sel:DWORD dst_unused:UNUSED_PAD src0_sel:DWORD src1_sel:WORD_1
	s_waitcnt vmcnt(3)
	v_mul_f16_sdwa v14, v92, v58 dst_sel:DWORD dst_unused:UNUSED_PAD src0_sel:DWORD src1_sel:WORD_1
	v_mul_f16_sdwa v15, v41, v58 dst_sel:DWORD dst_unused:UNUSED_PAD src0_sel:DWORD src1_sel:WORD_1
	v_fma_f16 v12, v42, v23, v12
	v_fma_f16 v14, v41, v58, v14
	v_fma_f16 v58, v92, v58, -v15
	ds_read_u16 v15, v24 offset:6480
	ds_read_u16 v23, v24 offset:6720
	;; [unrolled: 1-line block ×3, first 2 shown]
	ds_read_u16 v77, v28
	ds_read_u16 v79, v30 offset:960
	ds_read_u16 v85, v27
	s_waitcnt vmcnt(2) lgkmcnt(5)
	v_mul_f16_sdwa v41, v15, v68 dst_sel:DWORD dst_unused:UNUSED_PAD src0_sel:DWORD src1_sel:WORD_1
	v_fma_f16 v41, v38, v68, v41
	v_mul_f16_sdwa v38, v38, v68 dst_sel:DWORD dst_unused:UNUSED_PAD src0_sel:DWORD src1_sel:WORD_1
	v_fma_f16 v68, v15, v68, -v38
	s_waitcnt vmcnt(1) lgkmcnt(4)
	v_mul_f16_sdwa v15, v23, v4 dst_sel:DWORD dst_unused:UNUSED_PAD src0_sel:DWORD src1_sel:WORD_1
	v_fma_f16 v15, v37, v4, v15
	v_mul_f16_sdwa v37, v37, v4 dst_sel:DWORD dst_unused:UNUSED_PAD src0_sel:DWORD src1_sel:WORD_1
	v_fma_f16 v86, v23, v4, -v37
	s_waitcnt vmcnt(0) lgkmcnt(3)
	v_mul_f16_sdwa v4, v40, v84 dst_sel:DWORD dst_unused:UNUSED_PAD src0_sel:DWORD src1_sel:WORD_1
	v_mul_f16_sdwa v23, v39, v84 dst_sel:DWORD dst_unused:UNUSED_PAD src0_sel:DWORD src1_sel:WORD_1
	v_fma_f16 v4, v39, v84, v4
	v_fma_f16 v84, v40, v84, -v23
	v_mov_b32_e32 v23, 0x4b0
	v_cndmask_b32_e32 v23, 0, v23, vcc
	v_lshlrev_b32_e32 v37, 1, v62
	v_add3_u32 v62, 0, v23, v37
	v_lshlrev_b32_sdwa v23, v31, v66 dst_sel:DWORD dst_unused:UNUSED_PAD src0_sel:DWORD src1_sel:BYTE_0
	v_mul_u32_u24_e32 v31, 0x4b0, v65
	v_add3_u32 v65, 0, v31, v23
	v_add_f16_e32 v23, v61, v95
	v_fma_f16 v23, v23, -0.5, v36
	v_sub_f16_e32 v31, v1, v3
	v_fma_f16 v37, v31, s2, v23
	v_fma_f16 v23, v31, s3, v23
	v_add_f16_e32 v31, v80, v1
	v_add_f16_e32 v1, v1, v3
	;; [unrolled: 1-line block ×3, first 2 shown]
	v_fma_f16 v1, v1, -0.5, v80
	v_add_f16_e32 v3, v36, v61
	v_sub_f16_e32 v36, v61, v95
	v_fma_f16 v38, v36, s3, v1
	v_fma_f16 v1, v36, s2, v1
	v_add_f16_e32 v36, v88, v12
	v_fma_f16 v36, v36, -0.5, v82
	v_sub_f16_e32 v39, v2, v13
	v_fma_f16 v40, v39, s2, v36
	v_fma_f16 v36, v39, s3, v36
	v_add_f16_e32 v39, v0, v2
	v_add_f16_e32 v2, v2, v13
	v_fma_f16 v0, v2, -0.5, v0
	v_add_f16_e32 v2, v82, v88
	v_add_f16_e32 v2, v2, v12
	v_sub_f16_e32 v12, v88, v12
	v_add_f16_e32 v39, v39, v13
	v_fma_f16 v13, v12, s3, v0
	v_fma_f16 v0, v12, s2, v0
	v_mul_f16_e32 v12, 0xbaee, v13
	v_mul_f16_e32 v13, 0.5, v13
	v_fma_f16 v12, v40, 0.5, v12
	v_fma_f16 v13, v40, s3, v13
	v_mul_f16_e32 v40, 0xbaee, v0
	v_mul_f16_e32 v0, -0.5, v0
	v_fma_f16 v0, v36, s3, v0
	v_add_f16_e32 v87, v1, v0
	v_sub_f16_e32 v0, v1, v0
	v_add_f16_e32 v1, v96, v59
	v_add_f16_e32 v80, v38, v13
	v_sub_f16_e32 v82, v38, v13
	v_fma_f16 v1, v1, -0.5, v35
	v_sub_f16_e32 v13, v54, v57
	v_add_f16_e32 v61, v31, v39
	v_sub_f16_e32 v66, v31, v39
	v_fma_f16 v31, v13, s2, v1
	v_fma_f16 v1, v13, s3, v1
	v_add_f16_e32 v13, v5, v14
	v_fma_f16 v13, v13, -0.5, v60
	v_sub_f16_e32 v38, v56, v58
	v_fma_f16 v88, v38, s2, v13
	v_fma_f16 v89, v38, s3, v13
	v_add_f16_e32 v13, v60, v5
	v_add_f16_e32 v13, v13, v14
	v_sub_f16_e32 v5, v5, v14
	v_add_f16_e32 v14, v56, v58
	v_fma_f16 v14, v14, -0.5, v55
	v_fma_f16 v60, v5, s3, v14
	v_fma_f16 v90, v5, s2, v14
	v_add_f16_e32 v5, v35, v96
	v_add_f16_e32 v5, v5, v59
	;; [unrolled: 1-line block ×3, first 2 shown]
	v_sub_f16_e32 v5, v5, v13
	v_mul_f16_e32 v13, 0xbaee, v60
	v_fma_f16 v13, v88, 0.5, v13
	v_add_f16_e32 v35, v31, v13
	v_sub_f16_e32 v13, v31, v13
	v_mul_f16_e32 v31, 0xbaee, v90
	v_fma_f16 v31, v89, -0.5, v31
	v_add_f16_e32 v38, v1, v31
	v_sub_f16_e32 v1, v1, v31
	v_add_f16_e32 v31, v67, v69
	v_add_f16_e32 v3, v3, v95
	v_fma_f16 v40, v36, -0.5, v40
	v_fma_f16 v31, v31, -0.5, v34
	v_sub_f16_e32 v39, v53, v51
	v_add_f16_e32 v36, v3, v2
	v_sub_f16_e32 v2, v3, v2
	v_add_f16_e32 v3, v37, v12
	;; [unrolled: 2-line block ×3, first 2 shown]
	v_sub_f16_e32 v23, v23, v40
	v_fma_f16 v40, v39, s2, v31
	v_fma_f16 v31, v39, s3, v31
	v_add_f16_e32 v39, v7, v41
	v_fma_f16 v39, v39, -0.5, v6
	v_sub_f16_e32 v42, v52, v68
	v_fma_f16 v91, v42, s2, v39
	v_fma_f16 v92, v42, s3, v39
	v_add_f16_e32 v39, v52, v68
	v_add_f16_e32 v6, v6, v7
	v_sub_f16_e32 v7, v7, v41
	v_fma_f16 v39, v39, -0.5, v48
	v_fma_f16 v93, v7, s3, v39
	v_fma_f16 v94, v7, s2, v39
	v_add_f16_e32 v7, v34, v67
	v_add_f16_e32 v6, v6, v41
	;; [unrolled: 1-line block ×4, first 2 shown]
	v_sub_f16_e32 v6, v7, v6
	v_mul_f16_e32 v7, 0xbaee, v93
	v_fma_f16 v7, v91, 0.5, v7
	v_add_f16_e32 v39, v40, v7
	v_sub_f16_e32 v7, v40, v7
	v_mul_f16_e32 v40, 0xbaee, v94
	v_fma_f16 v40, v92, -0.5, v40
	v_add_f16_e32 v41, v31, v40
	v_sub_f16_e32 v31, v31, v40
	v_add_f16_e32 v40, v78, v71
	v_fma_f16 v40, v40, -0.5, v33
	v_sub_f16_e32 v42, v49, v46
	v_fma_f16 v43, v42, s2, v40
	v_fma_f16 v40, v42, s3, v40
	v_add_f16_e32 v42, v9, v15
	v_fma_f16 v42, v42, -0.5, v8
	v_add_f16_e32 v8, v8, v9
	v_add_f16_e32 v8, v8, v15
	v_sub_f16_e32 v9, v9, v15
	v_add_f16_e32 v15, v47, v86
	v_fma_f16 v15, v15, -0.5, v70
	v_fma_f16 v98, v9, s3, v15
	v_fma_f16 v99, v9, s2, v15
	v_add_f16_e32 v9, v33, v78
	v_sub_f16_e32 v44, v47, v86
	v_add_f16_e32 v9, v9, v71
	v_fma_f16 v95, v44, s2, v42
	v_fma_f16 v97, v44, s3, v42
	v_add_f16_e32 v15, v9, v8
	v_sub_f16_e32 v8, v9, v8
	v_mul_f16_e32 v9, 0xbaee, v98
	v_mul_f16_e32 v42, 0xbaee, v99
	v_fma_f16 v9, v95, 0.5, v9
	v_fma_f16 v42, v97, -0.5, v42
	v_add_f16_e32 v33, v43, v9
	v_sub_f16_e32 v9, v43, v9
	v_add_f16_e32 v43, v40, v42
	v_sub_f16_e32 v40, v40, v42
	v_add_f16_e32 v42, v74, v75
	v_fma_f16 v42, v42, -0.5, v32
	v_sub_f16_e32 v44, v45, v76
	v_fma_f16 v100, v44, s2, v42
	v_fma_f16 v42, v44, s3, v42
	v_add_f16_e32 v44, v11, v4
	v_fma_f16 v44, v44, -0.5, v10
	v_add_f16_e32 v10, v10, v11
	v_add_f16_e32 v10, v10, v4
	v_sub_f16_e32 v4, v11, v4
	v_add_f16_e32 v11, v50, v84
	v_fma_f16 v11, v11, -0.5, v72
	s_waitcnt lgkmcnt(0)
	s_barrier
	ds_write_b16 v62, v36
	ds_write_b16 v62, v3 offset:200
	ds_write_b16 v62, v37 offset:400
	;; [unrolled: 1-line block ×5, first 2 shown]
	ds_write_b16 v65, v14
	ds_write_b16 v65, v35 offset:200
	ds_write_b16 v65, v38 offset:400
	;; [unrolled: 1-line block ×5, first 2 shown]
	v_perm_b32 v1, v64, v29, s6
	s_movk_i32 s6, 0x4b0
	v_fma_f16 v103, v4, s3, v11
	v_fma_f16 v104, v4, s2, v11
	v_add_f16_e32 v4, v32, v74
	v_pk_mul_lo_u16 v1, v1, s6 op_sel_hi:[1,0]
	v_sub_f16_e32 v101, v50, v84
	v_add_f16_e32 v4, v4, v75
	v_lshlrev_b32_e32 v2, 1, v20
	v_and_b32_e32 v3, 0xfff0, v1
	v_fma_f16 v102, v101, s2, v44
	v_fma_f16 v101, v101, s3, v44
	v_add_f16_e32 v11, v4, v10
	v_sub_f16_e32 v4, v4, v10
	v_mul_f16_e32 v10, 0xbaee, v103
	v_mul_f16_e32 v44, 0xbaee, v104
	v_add3_u32 v2, 0, v3, v2
	v_lshrrev_b32_e32 v1, 16, v1
	v_lshlrev_b32_e32 v3, 1, v63
	v_fma_f16 v10, v102, 0.5, v10
	v_fma_f16 v44, v101, -0.5, v44
	v_add3_u32 v1, 0, v1, v3
	v_mul_u32_u24_e32 v3, 0x4b0, v73
	v_lshlrev_b32_e32 v5, 1, v83
	v_add_f16_e32 v32, v100, v10
	v_sub_f16_e32 v10, v100, v10
	v_add_f16_e32 v100, v42, v44
	v_sub_f16_e32 v42, v42, v44
	v_add3_u32 v3, 0, v3, v5
	ds_write_b16 v2, v34
	ds_write_b16 v2, v39 offset:200
	ds_write_b16 v2, v41 offset:400
	ds_write_b16 v2, v6 offset:600
	ds_write_b16 v2, v7 offset:800
	ds_write_b16 v2, v31 offset:1000
	ds_write_b16 v1, v15
	ds_write_b16 v1, v33 offset:200
	ds_write_b16 v1, v43 offset:400
	ds_write_b16 v1, v8 offset:600
	ds_write_b16 v1, v9 offset:800
	ds_write_b16 v1, v40 offset:1000
	;; [unrolled: 6-line block ×3, first 2 shown]
	s_waitcnt lgkmcnt(0)
	s_barrier
	ds_read_u16 v4, v24
	ds_read_u16 v23, v24 offset:1680
	ds_read_u16 v20, v24 offset:1920
	;; [unrolled: 1-line block ×25, first 2 shown]
	ds_read_u16 v28, v28
	ds_read_u16 v40, v30 offset:960
	ds_read_u16 v34, v27
	ds_read_u16 v44, v24 offset:6960
	s_waitcnt lgkmcnt(0)
	s_barrier
	ds_write_b16 v62, v61
	ds_write_b16 v62, v80 offset:200
	ds_write_b16 v62, v87 offset:400
	;; [unrolled: 1-line block ×5, first 2 shown]
	v_add_f16_e32 v0, v81, v54
	v_add_f16_e32 v54, v54, v57
	;; [unrolled: 1-line block ×3, first 2 shown]
	v_fma_f16 v54, v54, -0.5, v81
	v_sub_f16_e32 v57, v96, v59
	v_add_f16_e32 v55, v55, v56
	v_fma_f16 v59, v57, s3, v54
	v_fma_f16 v54, v57, s2, v54
	v_add_f16_e32 v55, v55, v58
	v_mul_f16_e32 v56, 0.5, v60
	v_mul_f16_e32 v57, -0.5, v90
	v_fma_f16 v56, v88, s3, v56
	v_fma_f16 v57, v89, s3, v57
	v_add_f16_e32 v58, v0, v55
	v_sub_f16_e32 v0, v0, v55
	v_add_f16_e32 v55, v59, v56
	v_sub_f16_e32 v56, v59, v56
	v_add_f16_e32 v59, v54, v57
	v_sub_f16_e32 v54, v54, v57
	ds_write_b16 v65, v58
	ds_write_b16 v65, v55 offset:200
	ds_write_b16 v65, v59 offset:400
	;; [unrolled: 1-line block ×5, first 2 shown]
	v_add_f16_e32 v0, v77, v53
	v_add_f16_e32 v0, v0, v51
	;; [unrolled: 1-line block ×3, first 2 shown]
	v_fma_f16 v51, v51, -0.5, v77
	v_sub_f16_e32 v53, v67, v69
	v_fma_f16 v54, v53, s3, v51
	v_fma_f16 v51, v53, s2, v51
	v_add_f16_e32 v48, v48, v52
	v_mul_f16_e32 v52, 0.5, v93
	v_mul_f16_e32 v53, -0.5, v94
	v_add_f16_e32 v48, v48, v68
	v_fma_f16 v52, v91, s3, v52
	v_fma_f16 v53, v92, s3, v53
	v_add_f16_e32 v55, v0, v48
	v_sub_f16_e32 v0, v0, v48
	v_add_f16_e32 v48, v54, v52
	v_sub_f16_e32 v52, v54, v52
	;; [unrolled: 2-line block ×3, first 2 shown]
	v_add_f16_e32 v53, v85, v49
	v_add_f16_e32 v53, v53, v46
	;; [unrolled: 1-line block ×3, first 2 shown]
	v_fma_f16 v46, v46, -0.5, v85
	v_sub_f16_e32 v49, v78, v71
	v_fma_f16 v56, v49, s3, v46
	v_fma_f16 v46, v49, s2, v46
	v_add_f16_e32 v47, v70, v47
	v_mul_f16_e32 v49, 0.5, v98
	v_mul_f16_e32 v57, -0.5, v99
	v_add_f16_e32 v47, v47, v86
	v_fma_f16 v49, v95, s3, v49
	v_fma_f16 v57, v97, s3, v57
	v_add_f16_e32 v58, v53, v47
	v_sub_f16_e32 v47, v53, v47
	v_add_f16_e32 v53, v56, v49
	v_sub_f16_e32 v49, v56, v49
	v_add_f16_e32 v56, v46, v57
	v_sub_f16_e32 v46, v46, v57
	v_add_f16_e32 v57, v79, v45
	v_add_f16_e32 v45, v45, v76
	v_fma_f16 v45, v45, -0.5, v79
	v_sub_f16_e32 v59, v74, v75
	v_fma_f16 v60, v59, s3, v45
	v_fma_f16 v45, v59, s2, v45
	v_add_f16_e32 v50, v72, v50
	v_mul_f16_e32 v59, 0.5, v103
	v_mul_f16_e32 v61, -0.5, v104
	v_add_f16_e32 v57, v57, v76
	v_add_f16_e32 v50, v50, v84
	v_fma_f16 v59, v102, s3, v59
	v_fma_f16 v61, v101, s3, v61
	v_add_f16_e32 v62, v57, v50
	v_sub_f16_e32 v50, v57, v50
	v_add_f16_e32 v57, v60, v59
	v_sub_f16_e32 v59, v60, v59
	;; [unrolled: 2-line block ×3, first 2 shown]
	ds_write_b16 v2, v55
	ds_write_b16 v2, v48 offset:200
	ds_write_b16 v2, v54 offset:400
	ds_write_b16 v2, v0 offset:600
	ds_write_b16 v2, v52 offset:800
	ds_write_b16 v2, v51 offset:1000
	ds_write_b16 v1, v58
	ds_write_b16 v1, v53 offset:200
	ds_write_b16 v1, v56 offset:400
	ds_write_b16 v1, v47 offset:600
	ds_write_b16 v1, v49 offset:800
	ds_write_b16 v1, v46 offset:1000
	;; [unrolled: 6-line block ×3, first 2 shown]
	s_waitcnt lgkmcnt(0)
	s_barrier
	s_and_saveexec_b64 s[6:7], s[0:1]
	s_cbranch_execz .LBB0_13
; %bb.12:
	v_mul_u32_u24_e32 v0, 5, v22
	v_lshlrev_b32_e32 v45, 2, v0
	global_load_dwordx4 v[0:3], v45, s[4:5] offset:2360
	global_load_dword v50, v45, s[4:5] offset:2376
	v_mul_u32_u24_e32 v26, 5, v26
	ds_read_u16 v51, v24 offset:3360
	ds_read_u16 v52, v24 offset:4560
	ds_read_u16 v30, v30 offset:960
	ds_read_u16 v27, v27
	v_lshlrev_b32_e32 v26, 2, v26
	ds_read_u16 v53, v24 offset:2400
	ds_read_u16 v54, v24 offset:2160
	;; [unrolled: 1-line block ×7, first 2 shown]
	global_load_dwordx4 v[46:49], v26, s[4:5] offset:2360
	ds_read_u16 v60, v24 offset:5760
	ds_read_u16 v61, v24 offset:5520
	;; [unrolled: 1-line block ×9, first 2 shown]
	global_load_dword v26, v26, s[4:5] offset:2376
	v_mul_i32_i24_e32 v45, 0xffffffee, v25
	ds_read_u16 v71, v24 offset:3120
	v_add_u32_e32 v19, v19, v45
	ds_read_u16 v45, v24 offset:2640
	ds_read_u16 v19, v19
	s_movk_i32 s0, 0x2000
	s_waitcnt vmcnt(3)
	v_mul_f16_sdwa v69, v41, v1 dst_sel:DWORD dst_unused:UNUSED_PAD src0_sel:DWORD src1_sel:WORD_1
	s_waitcnt lgkmcnt(14)
	v_mul_f16_sdwa v72, v51, v1 dst_sel:DWORD dst_unused:UNUSED_PAD src0_sel:DWORD src1_sel:WORD_1
	v_mul_f16_sdwa v75, v2, v52 dst_sel:DWORD dst_unused:UNUSED_PAD src0_sel:WORD_1 src1_sel:DWORD
	v_mul_f16_sdwa v77, v43, v2 dst_sel:DWORD dst_unused:UNUSED_PAD src0_sel:DWORD src1_sel:WORD_1
	s_waitcnt vmcnt(2)
	v_mul_f16_sdwa v78, v44, v50 dst_sel:DWORD dst_unused:UNUSED_PAD src0_sel:DWORD src1_sel:WORD_1
	v_mul_f16_sdwa v70, v42, v3 dst_sel:DWORD dst_unused:UNUSED_PAD src0_sel:DWORD src1_sel:WORD_1
	s_waitcnt lgkmcnt(11)
	v_mul_f16_sdwa v73, v60, v3 dst_sel:DWORD dst_unused:UNUSED_PAD src0_sel:DWORD src1_sel:WORD_1
	v_mul_f16_sdwa v74, v0, v54 dst_sel:DWORD dst_unused:UNUSED_PAD src0_sel:WORD_1 src1_sel:DWORD
	v_mul_f16_sdwa v76, v50, v56 dst_sel:DWORD dst_unused:UNUSED_PAD src0_sel:WORD_1 src1_sel:DWORD
	v_mul_f16_sdwa v79, v39, v0 dst_sel:DWORD dst_unused:UNUSED_PAD src0_sel:DWORD src1_sel:WORD_1
	v_fma_f16 v51, v1, v51, -v69
	v_fma_f16 v1, v41, v1, v72
	v_fma_f16 v41, v43, v2, v75
	v_fma_f16 v2, v2, v52, -v77
	v_fma_f16 v43, v50, v56, -v78
	;; [unrolled: 1-line block ×3, first 2 shown]
	v_fma_f16 v3, v42, v3, v73
	v_fma_f16 v39, v39, v0, v74
	;; [unrolled: 1-line block ×3, first 2 shown]
	v_fma_f16 v0, v0, v54, -v79
	v_add_f16_e32 v56, v2, v43
	v_add_f16_e32 v52, v41, v42
	v_sub_f16_e32 v54, v2, v43
	v_sub_f16_e32 v69, v41, v42
	v_add_f16_e32 v2, v0, v2
	v_fma_f16 v0, v56, -0.5, v0
	v_sub_f16_e32 v50, v1, v3
	v_add_f16_e32 v72, v1, v3
	v_add_f16_e32 v1, v40, v1
	;; [unrolled: 1-line block ×3, first 2 shown]
	v_fma_f16 v39, v52, -0.5, v39
	v_fma_f16 v52, v69, s2, v0
	v_fma_f16 v0, v69, s3, v0
	v_add_f16_e32 v44, v51, v60
	v_add_f16_e32 v70, v30, v51
	v_sub_f16_e32 v51, v51, v60
	v_add_f16_e32 v2, v2, v43
	v_fma_f16 v40, v72, -0.5, v40
	v_add_f16_e32 v43, v1, v3
	v_fma_f16 v3, v54, s3, v39
	v_fma_f16 v39, v54, s2, v39
	v_mul_f16_e32 v56, 0.5, v0
	v_mul_f16_e32 v0, 0xbaee, v0
	v_fma_f16 v54, v51, s3, v40
	v_fma_f16 v40, v51, s2, v40
	v_fma_f16 v0, v39, 0.5, v0
	v_fma_f16 v30, v44, -0.5, v30
	v_mul_f16_e32 v51, -0.5, v52
	v_mul_f16_e32 v52, 0xbaee, v52
	v_sub_f16_e32 v69, v40, v0
	v_add_f16_e32 v40, v40, v0
	v_mul_u32_u24_e32 v0, 5, v25
	v_add_f16_e32 v44, v70, v60
	v_fma_f16 v1, v50, s2, v30
	v_fma_f16 v51, v3, s3, v51
	v_fma_f16 v3, v3, -0.5, v52
	v_lshlrev_b32_e32 v25, 2, v0
	v_fma_f16 v30, v50, s3, v30
	v_sub_f16_e32 v50, v44, v2
	v_fma_f16 v56, v39, s3, v56
	v_sub_f16_e32 v39, v1, v51
	v_sub_f16_e32 v60, v54, v3
	v_add_f16_e32 v51, v1, v51
	v_add_f16_e32 v44, v44, v2
	;; [unrolled: 1-line block ×3, first 2 shown]
	global_load_dwordx4 v[0:3], v25, s[4:5] offset:2360
	v_add_f16_e32 v41, v41, v42
	global_load_dword v25, v25, s[4:5] offset:2376
	v_sub_f16_e32 v42, v43, v41
	v_add_f16_e32 v41, v43, v41
	s_waitcnt vmcnt(3)
	v_mul_f16_sdwa v43, v37, v47 dst_sel:DWORD dst_unused:UNUSED_PAD src0_sel:DWORD src1_sel:WORD_1
	s_waitcnt lgkmcnt(2)
	v_fma_f16 v43, v47, v71, -v43
	v_mul_f16_sdwa v71, v71, v47 dst_sel:DWORD dst_unused:UNUSED_PAD src0_sel:DWORD src1_sel:WORD_1
	v_mul_f16_sdwa v73, v48, v65 dst_sel:DWORD dst_unused:UNUSED_PAD src0_sel:WORD_1 src1_sel:DWORD
	s_waitcnt vmcnt(2)
	v_mul_f16_sdwa v75, v26, v57 dst_sel:DWORD dst_unused:UNUSED_PAD src0_sel:WORD_1 src1_sel:DWORD
	v_fma_f16 v37, v37, v47, v71
	v_mul_f16_sdwa v71, v46, v55 dst_sel:DWORD dst_unused:UNUSED_PAD src0_sel:WORD_1 src1_sel:DWORD
	v_fma_f16 v73, v35, v48, v73
	v_fma_f16 v75, v36, v26, v75
	v_mul_f16_sdwa v35, v35, v48 dst_sel:DWORD dst_unused:UNUSED_PAD src0_sel:DWORD src1_sel:WORD_1
	v_mul_f16_sdwa v36, v36, v26 dst_sel:DWORD dst_unused:UNUSED_PAD src0_sel:DWORD src1_sel:WORD_1
	v_fma_f16 v71, v20, v46, v71
	v_fma_f16 v35, v48, v65, -v35
	v_fma_f16 v26, v26, v57, -v36
	v_mul_f16_sdwa v20, v20, v46 dst_sel:DWORD dst_unused:UNUSED_PAD src0_sel:DWORD src1_sel:WORD_1
	v_mul_f16_sdwa v70, v38, v49 dst_sel:DWORD dst_unused:UNUSED_PAD src0_sel:DWORD src1_sel:WORD_1
	;; [unrolled: 1-line block ×3, first 2 shown]
	v_fma_f16 v20, v46, v55, -v20
	v_add_f16_e32 v46, v35, v26
	v_fma_f16 v70, v49, v61, -v70
	v_fma_f16 v38, v38, v49, v47
	v_add_f16_e32 v76, v73, v75
	v_fma_f16 v46, v46, -0.5, v20
	v_sub_f16_e32 v55, v73, v75
	v_add_f16_e32 v20, v20, v35
	v_add_f16_e32 v72, v43, v70
	v_fma_f16 v76, v76, -0.5, v71
	v_sub_f16_e32 v36, v35, v26
	v_fma_f16 v57, v55, s2, v46
	v_fma_f16 v46, v55, s3, v46
	v_add_f16_e32 v20, v20, v26
	v_add_f16_e32 v26, v37, v38
	v_sub_f16_e32 v52, v30, v56
	v_add_f16_e32 v30, v30, v56
	ds_read_u16 v56, v24 offset:2880
	ds_read_u16 v74, v24 offset:6480
	v_fma_f16 v72, v72, -0.5, v27
	v_sub_f16_e32 v47, v37, v38
	v_fma_f16 v48, v36, s3, v76
	v_fma_f16 v36, v36, s2, v76
	v_mul_f16_e32 v55, 0.5, v46
	v_add_f16_e32 v27, v27, v43
	v_fma_f16 v26, v26, -0.5, v34
	v_sub_f16_e32 v35, v43, v70
	v_fma_f16 v49, v47, s2, v72
	v_fma_f16 v47, v47, s3, v72
	;; [unrolled: 1-line block ×3, first 2 shown]
	v_add_f16_e32 v27, v27, v70
	v_fma_f16 v43, v35, s3, v26
	v_fma_f16 v70, v35, s2, v26
	v_mul_f16_e32 v26, 0xbaee, v46
	v_sub_f16_e32 v72, v47, v55
	v_sub_f16_e32 v76, v27, v20
	v_fma_f16 v46, v36, 0.5, v26
	v_add_f16_e32 v26, v34, v37
	v_add_f16_e32 v47, v47, v55
	;; [unrolled: 1-line block ×3, first 2 shown]
	v_mov_b32_e32 v20, 0xfffff8f8
	ds_read_u16 v61, v24 offset:1680
	v_mul_f16_e32 v65, -0.5, v57
	v_mul_f16_e32 v57, 0xbaee, v57
	v_add_f16_e32 v38, v26, v38
	v_add_f16_e32 v26, v71, v73
	v_mad_u32_u24 v20, v22, 5, v20
	v_fma_f16 v65, v48, s3, v65
	v_fma_f16 v48, v48, -0.5, v57
	v_add_f16_e32 v71, v26, v75
	v_lshl_add_u64 v[26:27], v[20:21], 2, s[4:5]
	v_sub_f16_e32 v57, v43, v48
	v_add_f16_e32 v43, v43, v48
	v_sub_f16_e32 v78, v70, v46
	global_load_dwordx4 v[34:37], v[26:27], off offset:2360
	v_add_f16_e32 v46, v70, v46
	global_load_dword v26, v[26:27], off offset:2376
	ds_read_u16 v27, v24 offset:1440
	s_waitcnt vmcnt(3)
	v_mul_f16_sdwa v20, v32, v1 dst_sel:DWORD dst_unused:UNUSED_PAD src0_sel:DWORD src1_sel:WORD_1
	s_waitcnt lgkmcnt(3)
	v_fma_f16 v20, v1, v56, -v20
	v_mul_f16_sdwa v48, v33, v3 dst_sel:DWORD dst_unused:UNUSED_PAD src0_sel:DWORD src1_sel:WORD_1
	v_mul_f16_sdwa v56, v56, v1 dst_sel:DWORD dst_unused:UNUSED_PAD src0_sel:DWORD src1_sel:WORD_1
	v_fma_f16 v48, v3, v62, -v48
	v_fma_f16 v1, v32, v1, v56
	v_mul_f16_sdwa v32, v62, v3 dst_sel:DWORD dst_unused:UNUSED_PAD src0_sel:DWORD src1_sel:WORD_1
	v_mul_f16_sdwa v62, v2, v66 dst_sel:DWORD dst_unused:UNUSED_PAD src0_sel:WORD_1 src1_sel:DWORD
	v_fma_f16 v62, v29, v2, v62
	v_mul_f16_sdwa v29, v29, v2 dst_sel:DWORD dst_unused:UNUSED_PAD src0_sel:DWORD src1_sel:WORD_1
	s_waitcnt lgkmcnt(1)
	v_mul_f16_sdwa v56, v0, v61 dst_sel:DWORD dst_unused:UNUSED_PAD src0_sel:WORD_1 src1_sel:DWORD
	s_waitcnt vmcnt(2)
	v_mul_f16_sdwa v70, v25, v74 dst_sel:DWORD dst_unused:UNUSED_PAD src0_sel:WORD_1 src1_sel:DWORD
	v_fma_f16 v2, v2, v66, -v29
	v_mul_f16_sdwa v29, v31, v25 dst_sel:DWORD dst_unused:UNUSED_PAD src0_sel:DWORD src1_sel:WORD_1
	v_fma_f16 v56, v23, v0, v56
	v_fma_f16 v70, v31, v25, v70
	v_fma_f16 v25, v25, v74, -v29
	v_mul_f16_sdwa v23, v23, v0 dst_sel:DWORD dst_unused:UNUSED_PAD src0_sel:DWORD src1_sel:WORD_1
	v_fma_f16 v0, v0, v61, -v23
	v_add_f16_e32 v23, v2, v25
	v_fma_f16 v3, v33, v3, v32
	v_fma_f16 v23, v23, -0.5, v0
	v_add_f16_e32 v0, v0, v2
	v_sub_f16_e32 v77, v49, v65
	v_sub_f16_e32 v73, v38, v71
	v_add_f16_e32 v49, v49, v65
	v_add_f16_e32 v38, v38, v71
	;; [unrolled: 1-line block ×4, first 2 shown]
	v_sub_f16_e32 v29, v2, v25
	v_sub_f16_e32 v61, v62, v70
	v_add_f16_e32 v25, v0, v25
	v_add_f16_e32 v0, v1, v3
	v_fma_f16 v65, v65, -0.5, v19
	v_fma_f16 v71, v71, -0.5, v56
	v_fma_f16 v66, v61, s2, v23
	v_fma_f16 v23, v61, s3, v23
	v_add_f16_e32 v19, v19, v20
	v_fma_f16 v0, v0, -0.5, v28
	v_sub_f16_e32 v2, v20, v48
	v_fma_f16 v31, v29, s3, v71
	v_mul_f16_e32 v74, -0.5, v66
	v_fma_f16 v29, v29, s2, v71
	v_add_f16_e32 v19, v19, v48
	v_fma_f16 v20, v2, s3, v0
	v_mul_f16_e32 v48, 0xbaee, v66
	v_fma_f16 v66, v2, s2, v0
	v_mul_f16_e32 v0, 0xbaee, v23
	v_mul_f16_e32 v61, 0.5, v23
	v_fma_f16 v23, v29, 0.5, v0
	v_add_f16_e32 v0, v28, v1
	v_add_f16_e32 v28, v0, v3
	;; [unrolled: 1-line block ×4, first 2 shown]
	v_mul_u32_u24_e32 v0, 5, v18
	v_lshlrev_b32_e32 v62, 2, v0
	v_sub_f16_e32 v32, v1, v3
	global_load_dwordx4 v[0:3], v62, s[4:5] offset:2360
	v_fma_f16 v61, v29, s3, v61
	v_sub_f16_e32 v71, v19, v25
	v_sub_f16_e32 v29, v66, v23
	v_add_f16_e32 v25, v19, v25
	v_add_f16_e32 v23, v66, v23
	ds_read_u16 v19, v24 offset:240
	ds_read_u16 v66, v24 offset:1200
	ds_read_u16 v24, v24
	global_load_dword v62, v62, s[4:5] offset:2376
	v_fma_f16 v74, v31, s3, v74
	v_fma_f16 v31, v31, -0.5, v48
	v_sub_f16_e32 v48, v20, v31
	v_add_f16_e32 v31, v20, v31
	v_fma_f16 v33, v32, s2, v65
	v_sub_f16_e32 v70, v28, v56
	v_add_f16_e32 v28, v28, v56
	v_sub_f16_e32 v75, v33, v74
	v_add_f16_e32 v33, v33, v74
	v_fma_f16 v32, v32, s3, v65
	s_waitcnt vmcnt(3)
	v_mul_f16_sdwa v20, v13, v35 dst_sel:DWORD dst_unused:UNUSED_PAD src0_sel:DWORD src1_sel:WORD_1
	v_fma_f16 v20, v35, v45, -v20
	v_mul_f16_sdwa v56, v15, v37 dst_sel:DWORD dst_unused:UNUSED_PAD src0_sel:DWORD src1_sel:WORD_1
	v_mul_f16_sdwa v45, v45, v35 dst_sel:DWORD dst_unused:UNUSED_PAD src0_sel:DWORD src1_sel:WORD_1
	v_fma_f16 v56, v37, v63, -v56
	v_fma_f16 v13, v13, v35, v45
	v_mul_f16_sdwa v35, v63, v37 dst_sel:DWORD dst_unused:UNUSED_PAD src0_sel:DWORD src1_sel:WORD_1
	v_mul_f16_sdwa v63, v36, v67 dst_sel:DWORD dst_unused:UNUSED_PAD src0_sel:WORD_1 src1_sel:DWORD
	s_waitcnt vmcnt(2)
	v_mul_f16_sdwa v74, v26, v58 dst_sel:DWORD dst_unused:UNUSED_PAD src0_sel:WORD_1 src1_sel:DWORD
	s_waitcnt lgkmcnt(3)
	v_mul_f16_sdwa v45, v34, v27 dst_sel:DWORD dst_unused:UNUSED_PAD src0_sel:WORD_1 src1_sel:DWORD
	v_fma_f16 v63, v12, v36, v63
	v_fma_f16 v74, v14, v26, v74
	v_mul_f16_sdwa v12, v12, v36 dst_sel:DWORD dst_unused:UNUSED_PAD src0_sel:DWORD src1_sel:WORD_1
	v_mul_f16_sdwa v14, v14, v26 dst_sel:DWORD dst_unused:UNUSED_PAD src0_sel:DWORD src1_sel:WORD_1
	v_fma_f16 v45, v11, v34, v45
	v_fma_f16 v12, v36, v67, -v12
	v_fma_f16 v14, v26, v58, -v14
	v_mul_f16_sdwa v11, v11, v34 dst_sel:DWORD dst_unused:UNUSED_PAD src0_sel:DWORD src1_sel:WORD_1
	v_fma_f16 v11, v34, v27, -v11
	v_add_f16_e32 v27, v12, v14
	v_add_f16_e32 v79, v63, v74
	v_fma_f16 v27, v27, -0.5, v11
	v_sub_f16_e32 v34, v63, v74
	v_sub_f16_e32 v65, v32, v61
	v_add_f16_e32 v32, v32, v61
	v_add_f16_e32 v61, v20, v56
	v_fma_f16 v15, v15, v37, v35
	v_fma_f16 v79, v79, -0.5, v45
	v_sub_f16_e32 v26, v12, v14
	v_fma_f16 v58, v34, s2, v27
	v_add_f16_e32 v11, v11, v12
	s_waitcnt lgkmcnt(2)
	v_fma_f16 v61, v61, -0.5, v19
	v_sub_f16_e32 v35, v13, v15
	v_fma_f16 v36, v26, s3, v79
	v_mul_f16_e32 v67, -0.5, v58
	v_fma_f16 v27, v34, s3, v27
	v_add_f16_e32 v11, v11, v14
	v_add_f16_e32 v14, v13, v15
	v_fma_f16 v37, v35, s2, v61
	v_fma_f16 v67, v36, s3, v67
	;; [unrolled: 1-line block ×3, first 2 shown]
	v_mul_f16_e32 v34, 0.5, v27
	v_add_f16_e32 v19, v19, v20
	v_fma_f16 v14, v14, -0.5, v9
	v_sub_f16_e32 v20, v20, v56
	v_mul_f16_e32 v58, 0xbaee, v58
	v_add_f16_e32 v9, v9, v13
	v_add_f16_e32 v13, v45, v63
	v_sub_f16_e32 v80, v37, v67
	v_fma_f16 v35, v35, s3, v61
	v_fma_f16 v34, v26, s3, v34
	v_add_f16_e32 v19, v19, v56
	v_fma_f16 v56, v20, s3, v14
	v_fma_f16 v36, v36, -0.5, v58
	v_fma_f16 v14, v20, s2, v14
	v_mul_f16_e32 v20, 0xbaee, v27
	v_add_f16_e32 v9, v9, v15
	v_add_f16_e32 v13, v13, v74
	;; [unrolled: 1-line block ×3, first 2 shown]
	v_sub_f16_e32 v61, v35, v34
	v_sub_f16_e32 v58, v56, v36
	s_waitcnt vmcnt(1)
	v_mul_f16_sdwa v37, v2, v68 dst_sel:DWORD dst_unused:UNUSED_PAD src0_sel:WORD_1 src1_sel:DWORD
	v_sub_f16_e32 v15, v9, v13
	v_add_f16_e32 v34, v35, v34
	v_add_f16_e32 v35, v56, v36
	;; [unrolled: 1-line block ×3, first 2 shown]
	v_mul_f16_sdwa v13, v6, v1 dst_sel:DWORD dst_unused:UNUSED_PAD src0_sel:DWORD src1_sel:WORD_1
	v_mul_f16_sdwa v36, v53, v1 dst_sel:DWORD dst_unused:UNUSED_PAD src0_sel:DWORD src1_sel:WORD_1
	v_fma_f16 v37, v7, v2, v37
	v_mul_f16_sdwa v7, v7, v2 dst_sel:DWORD dst_unused:UNUSED_PAD src0_sel:DWORD src1_sel:WORD_1
	v_fma_f16 v13, v1, v53, -v13
	v_fma_f16 v1, v6, v1, v36
	s_waitcnt lgkmcnt(1)
	v_mul_f16_sdwa v36, v0, v66 dst_sel:DWORD dst_unused:UNUSED_PAD src0_sel:WORD_1 src1_sel:DWORD
	v_fma_f16 v2, v2, v68, -v7
	s_waitcnt vmcnt(0)
	v_mul_f16_sdwa v7, v8, v62 dst_sel:DWORD dst_unused:UNUSED_PAD src0_sel:DWORD src1_sel:WORD_1
	v_sub_f16_e32 v12, v19, v11
	v_add_f16_e32 v11, v19, v11
	v_mul_f16_sdwa v19, v10, v3 dst_sel:DWORD dst_unused:UNUSED_PAD src0_sel:DWORD src1_sel:WORD_1
	v_fma_f16 v36, v5, v0, v36
	v_mul_f16_sdwa v45, v62, v59 dst_sel:DWORD dst_unused:UNUSED_PAD src0_sel:WORD_1 src1_sel:DWORD
	v_fma_f16 v7, v62, v59, -v7
	v_mul_f16_sdwa v5, v5, v0 dst_sel:DWORD dst_unused:UNUSED_PAD src0_sel:DWORD src1_sel:WORD_1
	v_fma_f16 v20, v26, 0.5, v20
	v_fma_f16 v19, v3, v64, -v19
	v_mul_f16_sdwa v6, v64, v3 dst_sel:DWORD dst_unused:UNUSED_PAD src0_sel:DWORD src1_sel:WORD_1
	v_fma_f16 v45, v8, v62, v45
	v_fma_f16 v0, v0, v66, -v5
	v_add_f16_e32 v5, v2, v7
	v_sub_f16_e32 v26, v14, v20
	v_add_f16_e32 v14, v14, v20
	v_add_f16_e32 v20, v13, v19
	v_fma_f16 v3, v10, v3, v6
	v_add_f16_e32 v53, v37, v45
	v_fma_f16 v5, v5, -0.5, v0
	v_sub_f16_e32 v59, v37, v45
	s_waitcnt lgkmcnt(0)
	v_fma_f16 v20, v20, -0.5, v24
	v_sub_f16_e32 v6, v1, v3
	v_fma_f16 v53, v53, -0.5, v36
	v_sub_f16_e32 v8, v2, v7
	v_fma_f16 v62, v59, s2, v5
	v_fma_f16 v5, v59, s3, v5
	v_add_f16_e32 v0, v0, v2
	v_add_f16_e32 v2, v1, v3
	v_fma_f16 v10, v6, s2, v20
	v_fma_f16 v56, v8, s3, v53
	v_mul_f16_e32 v63, -0.5, v62
	v_fma_f16 v6, v6, s3, v20
	v_fma_f16 v8, v8, s2, v53
	v_mul_f16_e32 v20, 0.5, v5
	v_add_f16_e32 v24, v24, v13
	v_fma_f16 v2, v2, -0.5, v4
	v_sub_f16_e32 v13, v13, v19
	v_mul_f16_e32 v59, 0xbaee, v62
	v_mul_f16_e32 v5, 0xbaee, v5
	v_add_f16_e32 v1, v4, v1
	v_fma_f16 v63, v56, s3, v63
	v_fma_f16 v20, v8, s3, v20
	v_add_f16_e32 v24, v24, v19
	v_fma_f16 v19, v13, s3, v2
	v_fma_f16 v56, v56, -0.5, v59
	v_fma_f16 v2, v13, s2, v2
	v_fma_f16 v5, v8, 0.5, v5
	v_add_f16_e32 v1, v1, v3
	v_add_f16_e32 v3, v36, v37
	v_sub_f16_e32 v53, v6, v20
	v_add_f16_e32 v0, v0, v7
	v_sub_f16_e32 v59, v19, v56
	v_sub_f16_e32 v8, v2, v5
	v_add_f16_e32 v3, v3, v45
	v_add_f16_e32 v6, v6, v20
	v_add_f16_e32 v20, v19, v56
	v_add_f16_e32 v2, v2, v5
	v_mov_b32_e32 v19, v21
	v_sub_f16_e32 v7, v24, v0
	v_sub_f16_e32 v4, v1, v3
	v_add_f16_e32 v13, v24, v0
	v_add_f16_e32 v3, v1, v3
	v_lshl_add_u64 v[0:1], v[18:19], 2, v[16:17]
	v_pack_b32_f16 v2, v2, v6
	s_movk_i32 s2, 0x1000
	v_pack_b32_f16 v3, v3, v13
	global_store_dword v[0:1], v2, off offset:2400
	v_add_co_u32_e32 v2, vcc, s2, v0
	v_sub_f16_e32 v64, v10, v63
	v_add_f16_e32 v10, v10, v63
	global_store_dword v[0:1], v3, off
	v_addc_co_u32_e32 v3, vcc, 0, v1, vcc
	v_pack_b32_f16 v4, v4, v7
	v_pack_b32_f16 v5, v20, v10
	global_store_dword v[2:3], v4, off offset:3104
	v_add_co_u32_e32 v4, vcc, s0, v0
	global_store_dword v[2:3], v5, off offset:704
	v_pack_b32_f16 v6, v8, v53
	v_addc_co_u32_e32 v5, vcc, 0, v1, vcc
	global_store_dword v[4:5], v6, off offset:1408
	v_pack_b32_f16 v6, v59, v64
	global_store_dword v[4:5], v6, off offset:3808
	v_pack_b32_f16 v6, v9, v11
	;; [unrolled: 2-line block ×4, first 2 shown]
	v_or_b32_e32 v20, 0x780, v18
	global_store_dword v[2:3], v6, off offset:1184
	v_lshl_add_u64 v[6:7], v[20:21], 2, v[16:17]
	v_pack_b32_f16 v8, v15, v12
	global_store_dword v[6:7], v8, off
	v_pack_b32_f16 v6, v26, v61
	s_movk_i32 s0, 0x3000
	global_store_dword v[4:5], v6, off offset:1888
	v_add_co_u32_e32 v6, vcc, s0, v0
	v_pack_b32_f16 v8, v58, v80
	s_nop 0
	v_addc_co_u32_e32 v7, vcc, 0, v1, vcc
	global_store_dword v[6:7], v8, off offset:192
	v_pack_b32_f16 v8, v28, v25
	global_store_dword v[0:1], v8, off offset:960
	v_pack_b32_f16 v8, v23, v32
	;; [unrolled: 2-line block ×12, first 2 shown]
	s_mov_b32 s0, 0x1b4e81b5
	global_store_dword v[6:7], v2, off offset:1152
	v_mul_hi_u32 v2, v22, s0
	v_lshrrev_b32_e32 v2, 6, v2
	v_mul_u32_u24_e32 v20, 0xbb8, v2
	v_lshl_add_u64 v[0:1], v[20:21], 2, v[0:1]
	s_mov_b64 s[0:1], 0x780
	v_pack_b32_f16 v4, v41, v44
	v_lshl_add_u64 v[2:3], v[0:1], 0, s[0:1]
	global_store_dword v[0:1], v4, off offset:1920
	v_pack_b32_f16 v4, v40, v30
	global_store_dword v[2:3], v4, off offset:2400
	v_add_co_u32_e32 v2, vcc, s2, v0
	v_pack_b32_f16 v4, v54, v51
	s_nop 0
	v_addc_co_u32_e32 v3, vcc, 0, v1, vcc
	global_store_dword v[2:3], v4, off offset:2624
	v_add_co_u32_e32 v2, vcc, 0x2000, v0
	v_pack_b32_f16 v4, v42, v50
	s_nop 0
	v_addc_co_u32_e32 v3, vcc, 0, v1, vcc
	global_store_dword v[2:3], v4, off offset:928
	v_pack_b32_f16 v4, v69, v52
	v_add_co_u32_e32 v0, vcc, 0x3000, v0
	global_store_dword v[2:3], v4, off offset:3328
	v_pack_b32_f16 v2, v60, v39
	v_addc_co_u32_e32 v1, vcc, 0, v1, vcc
	global_store_dword v[0:1], v2, off offset:1632
.LBB0_13:
	s_endpgm
	.section	.rodata,"a",@progbits
	.p2align	6, 0x0
	.amdhsa_kernel fft_rtc_back_len3600_factors_10_10_6_6_wgs_120_tpt_120_halfLds_half_ip_CI_unitstride_sbrr_dirReg
		.amdhsa_group_segment_fixed_size 0
		.amdhsa_private_segment_fixed_size 0
		.amdhsa_kernarg_size 88
		.amdhsa_user_sgpr_count 2
		.amdhsa_user_sgpr_dispatch_ptr 0
		.amdhsa_user_sgpr_queue_ptr 0
		.amdhsa_user_sgpr_kernarg_segment_ptr 1
		.amdhsa_user_sgpr_dispatch_id 0
		.amdhsa_user_sgpr_kernarg_preload_length 0
		.amdhsa_user_sgpr_kernarg_preload_offset 0
		.amdhsa_user_sgpr_private_segment_size 0
		.amdhsa_uses_dynamic_stack 0
		.amdhsa_enable_private_segment 0
		.amdhsa_system_sgpr_workgroup_id_x 1
		.amdhsa_system_sgpr_workgroup_id_y 0
		.amdhsa_system_sgpr_workgroup_id_z 0
		.amdhsa_system_sgpr_workgroup_info 0
		.amdhsa_system_vgpr_workitem_id 0
		.amdhsa_next_free_vgpr 105
		.amdhsa_next_free_sgpr 22
		.amdhsa_accum_offset 108
		.amdhsa_reserve_vcc 1
		.amdhsa_float_round_mode_32 0
		.amdhsa_float_round_mode_16_64 0
		.amdhsa_float_denorm_mode_32 3
		.amdhsa_float_denorm_mode_16_64 3
		.amdhsa_dx10_clamp 1
		.amdhsa_ieee_mode 1
		.amdhsa_fp16_overflow 0
		.amdhsa_tg_split 0
		.amdhsa_exception_fp_ieee_invalid_op 0
		.amdhsa_exception_fp_denorm_src 0
		.amdhsa_exception_fp_ieee_div_zero 0
		.amdhsa_exception_fp_ieee_overflow 0
		.amdhsa_exception_fp_ieee_underflow 0
		.amdhsa_exception_fp_ieee_inexact 0
		.amdhsa_exception_int_div_zero 0
	.end_amdhsa_kernel
	.text
.Lfunc_end0:
	.size	fft_rtc_back_len3600_factors_10_10_6_6_wgs_120_tpt_120_halfLds_half_ip_CI_unitstride_sbrr_dirReg, .Lfunc_end0-fft_rtc_back_len3600_factors_10_10_6_6_wgs_120_tpt_120_halfLds_half_ip_CI_unitstride_sbrr_dirReg
                                        ; -- End function
	.section	.AMDGPU.csdata,"",@progbits
; Kernel info:
; codeLenInByte = 16772
; NumSgprs: 28
; NumVgprs: 105
; NumAgprs: 0
; TotalNumVgprs: 105
; ScratchSize: 0
; MemoryBound: 0
; FloatMode: 240
; IeeeMode: 1
; LDSByteSize: 0 bytes/workgroup (compile time only)
; SGPRBlocks: 3
; VGPRBlocks: 13
; NumSGPRsForWavesPerEU: 28
; NumVGPRsForWavesPerEU: 105
; AccumOffset: 108
; Occupancy: 4
; WaveLimiterHint : 1
; COMPUTE_PGM_RSRC2:SCRATCH_EN: 0
; COMPUTE_PGM_RSRC2:USER_SGPR: 2
; COMPUTE_PGM_RSRC2:TRAP_HANDLER: 0
; COMPUTE_PGM_RSRC2:TGID_X_EN: 1
; COMPUTE_PGM_RSRC2:TGID_Y_EN: 0
; COMPUTE_PGM_RSRC2:TGID_Z_EN: 0
; COMPUTE_PGM_RSRC2:TIDIG_COMP_CNT: 0
; COMPUTE_PGM_RSRC3_GFX90A:ACCUM_OFFSET: 26
; COMPUTE_PGM_RSRC3_GFX90A:TG_SPLIT: 0
	.text
	.p2alignl 6, 3212836864
	.fill 256, 4, 3212836864
	.type	__hip_cuid_ee4daafe43f8b5e7,@object ; @__hip_cuid_ee4daafe43f8b5e7
	.section	.bss,"aw",@nobits
	.globl	__hip_cuid_ee4daafe43f8b5e7
__hip_cuid_ee4daafe43f8b5e7:
	.byte	0                               ; 0x0
	.size	__hip_cuid_ee4daafe43f8b5e7, 1

	.ident	"AMD clang version 19.0.0git (https://github.com/RadeonOpenCompute/llvm-project roc-6.4.0 25133 c7fe45cf4b819c5991fe208aaa96edf142730f1d)"
	.section	".note.GNU-stack","",@progbits
	.addrsig
	.addrsig_sym __hip_cuid_ee4daafe43f8b5e7
	.amdgpu_metadata
---
amdhsa.kernels:
  - .agpr_count:     0
    .args:
      - .actual_access:  read_only
        .address_space:  global
        .offset:         0
        .size:           8
        .value_kind:     global_buffer
      - .offset:         8
        .size:           8
        .value_kind:     by_value
      - .actual_access:  read_only
        .address_space:  global
        .offset:         16
        .size:           8
        .value_kind:     global_buffer
      - .actual_access:  read_only
        .address_space:  global
        .offset:         24
        .size:           8
        .value_kind:     global_buffer
      - .offset:         32
        .size:           8
        .value_kind:     by_value
      - .actual_access:  read_only
        .address_space:  global
        .offset:         40
        .size:           8
        .value_kind:     global_buffer
      - .actual_access:  read_only
        .address_space:  global
        .offset:         48
        .size:           8
        .value_kind:     global_buffer
      - .offset:         56
        .size:           4
        .value_kind:     by_value
      - .actual_access:  read_only
        .address_space:  global
        .offset:         64
        .size:           8
        .value_kind:     global_buffer
      - .actual_access:  read_only
        .address_space:  global
        .offset:         72
        .size:           8
        .value_kind:     global_buffer
      - .address_space:  global
        .offset:         80
        .size:           8
        .value_kind:     global_buffer
    .group_segment_fixed_size: 0
    .kernarg_segment_align: 8
    .kernarg_segment_size: 88
    .language:       OpenCL C
    .language_version:
      - 2
      - 0
    .max_flat_workgroup_size: 120
    .name:           fft_rtc_back_len3600_factors_10_10_6_6_wgs_120_tpt_120_halfLds_half_ip_CI_unitstride_sbrr_dirReg
    .private_segment_fixed_size: 0
    .sgpr_count:     28
    .sgpr_spill_count: 0
    .symbol:         fft_rtc_back_len3600_factors_10_10_6_6_wgs_120_tpt_120_halfLds_half_ip_CI_unitstride_sbrr_dirReg.kd
    .uniform_work_group_size: 1
    .uses_dynamic_stack: false
    .vgpr_count:     105
    .vgpr_spill_count: 0
    .wavefront_size: 64
amdhsa.target:   amdgcn-amd-amdhsa--gfx950
amdhsa.version:
  - 1
  - 2
...

	.end_amdgpu_metadata
